;; amdgpu-corpus repo=ROCm/rocFFT kind=compiled arch=gfx1201 opt=O3
	.text
	.amdgcn_target "amdgcn-amd-amdhsa--gfx1201"
	.amdhsa_code_object_version 6
	.protected	bluestein_single_back_len3840_dim1_half_op_CI_CI ; -- Begin function bluestein_single_back_len3840_dim1_half_op_CI_CI
	.globl	bluestein_single_back_len3840_dim1_half_op_CI_CI
	.p2align	8
	.type	bluestein_single_back_len3840_dim1_half_op_CI_CI,@function
bluestein_single_back_len3840_dim1_half_op_CI_CI: ; @bluestein_single_back_len3840_dim1_half_op_CI_CI
; %bb.0:
	s_load_b128 s[12:15], s[0:1], 0x28
	v_mov_b32_e32 v228, v0
	s_mov_b32 s2, ttmp9
	s_mov_b32 s3, 0
	s_mov_b32 s5, exec_lo
	s_wait_kmcnt 0x0
	v_cmpx_lt_u64_e64 s[2:3], s[12:13]
	s_cbranch_execz .LBB0_2
; %bb.1:
	s_clause 0x1
	s_load_b128 s[8:11], s[0:1], 0x18
	s_load_b128 s[4:7], s[0:1], 0x0
	v_dual_mov_b32 v5, s3 :: v_dual_mov_b32 v4, s2
	s_load_b64 s[0:1], s[0:1], 0x38
	v_lshlrev_b32_e32 v58, 2, v228
	scratch_store_b64 off, v[4:5], off offset:192 ; 8-byte Folded Spill
	v_add_nc_u32_e32 v163, 0x80, v58
	s_wait_kmcnt 0x0
	s_load_b128 s[16:19], s[8:9], 0x0
	s_clause 0x1
	global_load_b32 v177, v58, s[4:5]
	global_load_b32 v182, v58, s[4:5] offset:3072
	s_wait_kmcnt 0x0
	v_mad_co_u64_u32 v[0:1], null, s18, v4, 0
	v_mad_co_u64_u32 v[2:3], null, s16, v228, 0
	s_mul_i32 s8, s17, 0xffffcc00
	s_mul_u64 s[2:3], s[16:17], 0x600
	s_sub_co_i32 s8, s8, s16
	s_delay_alu instid0(VALU_DEP_1) | instskip(NEXT) | instid1(VALU_DEP_1)
	v_mad_co_u64_u32 v[4:5], null, s19, v4, v[1:2]
	v_mad_co_u64_u32 v[5:6], null, s17, v228, v[3:4]
	v_mov_b32_e32 v1, v4
	s_delay_alu instid0(VALU_DEP_1) | instskip(NEXT) | instid1(VALU_DEP_3)
	v_lshlrev_b64_e32 v[0:1], 2, v[0:1]
	v_mov_b32_e32 v3, v5
	s_delay_alu instid0(VALU_DEP_2) | instskip(NEXT) | instid1(VALU_DEP_2)
	v_add_co_u32 v0, vcc_lo, s14, v0
	v_lshlrev_b64_e32 v[2:3], 2, v[2:3]
	s_delay_alu instid0(VALU_DEP_4) | instskip(NEXT) | instid1(VALU_DEP_2)
	v_add_co_ci_u32_e32 v1, vcc_lo, s15, v1, vcc_lo
	v_add_co_u32 v7, vcc_lo, v0, v2
	s_wait_alu 0xfffd
	s_delay_alu instid0(VALU_DEP_2) | instskip(SKIP_1) | instid1(VALU_DEP_2)
	v_add_co_ci_u32_e32 v8, vcc_lo, v1, v3, vcc_lo
	s_wait_alu 0xfffe
	v_add_co_u32 v9, vcc_lo, v7, s2
	s_wait_alu 0xfffd
	s_delay_alu instid0(VALU_DEP_2)
	v_add_co_ci_u32_e32 v10, vcc_lo, s3, v8, vcc_lo
	global_load_b32 v0, v[7:8], off
	v_add_co_u32 v11, vcc_lo, v9, s2
	s_wait_alu 0xfffd
	v_add_co_ci_u32_e32 v12, vcc_lo, s3, v10, vcc_lo
	s_clause 0x1
	global_load_b32 v52, v58, s[4:5] offset:512
	global_load_b32 v186, v58, s[4:5] offset:6144
	global_load_b32 v21, v[11:12], off
	v_add_co_u32 v13, vcc_lo, v11, s2
	s_wait_alu 0xfffd
	v_add_co_ci_u32_e32 v14, vcc_lo, s3, v12, vcc_lo
	global_load_b32 v53, v58, s[4:5] offset:9216
	v_add_co_u32 v15, vcc_lo, v13, s2
	s_wait_alu 0xfffd
	v_add_co_ci_u32_e32 v16, vcc_lo, s3, v14, vcc_lo
	s_delay_alu instid0(VALU_DEP_2) | instskip(SKIP_1) | instid1(VALU_DEP_2)
	v_add_co_u32 v1, vcc_lo, v15, s2
	s_wait_alu 0xfffd
	v_add_co_ci_u32_e32 v2, vcc_lo, s3, v16, vcc_lo
	global_load_b32 v22, v[15:16], off
	v_add_co_u32 v17, vcc_lo, v1, s2
	s_wait_alu 0xfffd
	v_add_co_ci_u32_e32 v18, vcc_lo, s3, v2, vcc_lo
	s_delay_alu instid0(VALU_DEP_2) | instskip(SKIP_1) | instid1(VALU_DEP_2)
	v_add_co_u32 v5, vcc_lo, v17, s2
	s_wait_alu 0xfffd
	v_add_co_ci_u32_e32 v6, vcc_lo, s3, v18, vcc_lo
	s_delay_alu instid0(VALU_DEP_2) | instskip(SKIP_1) | instid1(VALU_DEP_2)
	;; [unrolled: 4-line block ×3, first 2 shown]
	v_add_co_u32 v3, vcc_lo, v7, s2
	s_wait_alu 0xfffd
	v_add_co_ci_u32_e32 v4, vcc_lo, s3, v8, vcc_lo
	s_delay_alu instid0(VALU_DEP_1) | instskip(NEXT) | instid1(VALU_DEP_1)
	v_mad_co_u64_u32 v[11:12], null, 0xffffcc00, s16, v[3:4]
	v_add_nc_u32_e32 v12, s8, v12
	global_load_b32 v23, v[17:18], off
	global_load_b32 v24, v[11:12], off
	v_add_co_u32 v11, vcc_lo, v11, s2
	s_wait_alu 0xfffd
	v_add_co_ci_u32_e32 v12, vcc_lo, s3, v12, vcc_lo
	s_delay_alu instid0(VALU_DEP_2) | instskip(SKIP_1) | instid1(VALU_DEP_2)
	v_add_co_u32 v15, vcc_lo, v11, s2
	s_wait_alu 0xfffd
	v_add_co_ci_u32_e32 v16, vcc_lo, s3, v12, vcc_lo
	global_load_b32 v50, v58, s[4:5] offset:3584
	global_load_b32 v25, v[15:16], off
	v_add_co_u32 v15, vcc_lo, v15, s2
	s_wait_alu 0xfffd
	v_add_co_ci_u32_e32 v16, vcc_lo, s3, v16, vcc_lo
	s_delay_alu instid0(VALU_DEP_2) | instskip(SKIP_1) | instid1(VALU_DEP_2)
	v_add_co_u32 v17, vcc_lo, v15, s2
	s_wait_alu 0xfffd
	v_add_co_ci_u32_e32 v18, vcc_lo, s3, v16, vcc_lo
	global_load_b32 v48, v58, s[4:5] offset:6656
	;; [unrolled: 9-line block ×3, first 2 shown]
	global_load_b32 v27, v[19:20], off
	global_load_b32 v51, v58, s[4:5] offset:12288
	global_load_b32 v28, v[7:8], off
	v_add_co_u32 v7, vcc_lo, v19, s2
	s_wait_alu 0xfffd
	v_add_co_ci_u32_e32 v8, vcc_lo, s3, v20, vcc_lo
	s_delay_alu instid0(VALU_DEP_2) | instskip(SKIP_1) | instid1(VALU_DEP_2)
	v_add_co_u32 v19, vcc_lo, v7, s2
	s_wait_alu 0xfffd
	v_add_co_ci_u32_e32 v20, vcc_lo, s3, v8, vcc_lo
	global_load_b32 v44, v58, s[4:5] offset:12800
	global_load_b32 v29, v[19:20], off
	global_load_b32 v172, v58, s[4:5] offset:1536
	s_clause 0x1
	global_load_b32 v30, v[13:14], off
	global_load_b32 v31, v[9:10], off
	v_add_co_u32 v9, vcc_lo, v19, s2
	s_wait_alu 0xfffd
	v_add_co_ci_u32_e32 v10, vcc_lo, s3, v20, vcc_lo
	s_clause 0x1
	global_load_b32 v49, v58, s[4:5] offset:2048
	global_load_b32 v42, v58, s[4:5] offset:2560
	v_mad_co_u64_u32 v[13:14], null, 0xffffcc00, s16, v[9:10]
	s_delay_alu instid0(VALU_DEP_1)
	v_add_nc_u32_e32 v14, s8, v14
	global_load_b32 v43, v58, s[4:5] offset:1024
	global_load_b32 v19, v[13:14], off
	global_load_b32 v20, v[11:12], off
	v_add_co_u32 v11, vcc_lo, v13, s2
	s_wait_alu 0xfffd
	v_add_co_ci_u32_e32 v12, vcc_lo, s3, v14, vcc_lo
	global_load_b32 v13, v[11:12], off
	s_clause 0x3
	global_load_b32 v178, v58, s[4:5] offset:4608
	global_load_b32 v47, v58, s[4:5] offset:5120
	;; [unrolled: 1-line block ×4, first 2 shown]
	v_add_co_u32 v11, vcc_lo, v11, s2
	s_wait_alu 0xfffd
	v_add_co_ci_u32_e32 v12, vcc_lo, s3, v12, vcc_lo
	global_load_b32 v41, v58, s[4:5] offset:4096
	global_load_b32 v14, v[11:12], off
	s_clause 0x4
	global_load_b32 v219, v58, s[4:5] offset:7680
	global_load_b32 v45, v58, s[4:5] offset:11264
	;; [unrolled: 1-line block ×5, first 2 shown]
	global_load_b32 v32, v[1:2], off
	global_load_b32 v33, v[5:6], off
	;; [unrolled: 1-line block ×6, first 2 shown]
	v_add_co_u32 v1, vcc_lo, v11, s2
	s_wait_alu 0xfffd
	v_add_co_ci_u32_e32 v2, vcc_lo, s3, v12, vcc_lo
	global_load_b32 v8, v[9:10], off
	v_add_co_u32 v3, vcc_lo, v1, s2
	s_wait_alu 0xfffd
	v_add_co_ci_u32_e32 v4, vcc_lo, s3, v2, vcc_lo
	global_load_b32 v9, v[1:2], off
	v_add_co_u32 v1, vcc_lo, v3, s2
	s_wait_alu 0xfffd
	v_add_co_ci_u32_e32 v2, vcc_lo, s3, v4, vcc_lo
	global_load_b32 v10, v[3:4], off
	v_add_co_u32 v3, vcc_lo, v1, s2
	s_wait_alu 0xfffd
	v_add_co_ci_u32_e32 v4, vcc_lo, s3, v2, vcc_lo
	global_load_b32 v11, v[1:2], off
	v_add_co_u32 v1, vcc_lo, v3, s2
	s_wait_alu 0xfffd
	v_add_co_ci_u32_e32 v2, vcc_lo, s3, v4, vcc_lo
	global_load_b32 v12, v[3:4], off
	v_add_co_u32 v3, vcc_lo, v1, s2
	s_wait_alu 0xfffd
	v_add_co_ci_u32_e32 v4, vcc_lo, s3, v2, vcc_lo
	global_load_b32 v1, v[1:2], off
	global_load_b32 v2, v[3:4], off
	v_add_co_u32 v5, vcc_lo, v3, s2
	s_wait_alu 0xfffd
	v_add_co_ci_u32_e32 v6, vcc_lo, s3, v4, vcc_lo
	v_cmp_gt_u32_e32 vcc_lo, 0x78, v228
	global_load_b32 v4, v[5:6], off
	s_wait_loadcnt 0x35
	v_lshrrev_b32_e32 v18, 16, v177
	s_wait_loadcnt 0x33
	v_lshrrev_b32_e32 v17, 16, v0
	s_delay_alu instid0(VALU_DEP_2) | instskip(SKIP_2) | instid1(VALU_DEP_3)
	v_mul_f16_e32 v3, v18, v0
	s_wait_loadcnt 0x32
	v_lshrrev_b32_e32 v54, 16, v52
	v_mul_f16_e32 v5, v18, v17
	s_delay_alu instid0(VALU_DEP_3)
	v_fma_f16 v3, v177, v17, -v3
	s_wait_loadcnt 0x31
	v_lshrrev_b32_e32 v55, 16, v186
	v_lshrrev_b32_e32 v18, 16, v182
	s_wait_loadcnt 0x30
	v_lshrrev_b32_e32 v6, 16, v21
	v_fmac_f16_e64 v5, v177, v0
	s_wait_loadcnt 0x2f
	scratch_store_b32 off, v53, off offset:180 ; 4-byte Folded Spill
	v_mul_f16_e32 v17, v18, v21
	v_mul_f16_e32 v18, v18, v6
	v_pack_b32_f16 v3, v5, v3
	s_delay_alu instid0(VALU_DEP_3) | instskip(NEXT) | instid1(VALU_DEP_3)
	v_fma_f16 v6, v182, v6, -v17
	v_fmac_f16_e64 v18, v182, v21
	s_wait_loadcnt 0x2e
	v_lshrrev_b32_e32 v0, 16, v22
	v_mul_f16_e32 v5, v55, v22
	s_delay_alu instid0(VALU_DEP_3) | instskip(NEXT) | instid1(VALU_DEP_3)
	v_pack_b32_f16 v6, v18, v6
	v_mul_f16_e32 v35, v55, v0
	s_delay_alu instid0(VALU_DEP_3) | instskip(SKIP_1) | instid1(VALU_DEP_3)
	v_fma_f16 v0, v186, v0, -v5
	v_lshrrev_b32_e32 v55, 16, v53
	v_fmac_f16_e64 v35, v186, v22
	s_delay_alu instid0(VALU_DEP_1)
	v_pack_b32_f16 v0, v35, v0
	global_load_b32 v35, v58, s[4:5] offset:8192
	s_wait_loadcnt 0x2e
	v_lshrrev_b32_e32 v5, 16, v23
	s_wait_loadcnt 0x2d
	v_lshrrev_b32_e32 v17, 16, v24
	v_mul_f16_e32 v18, v54, v24
	v_mul_f16_e32 v21, v55, v23
	s_delay_alu instid0(VALU_DEP_3) | instskip(NEXT) | instid1(VALU_DEP_3)
	v_mul_f16_e32 v22, v54, v17
	v_fma_f16 v17, v52, v17, -v18
	s_delay_alu instid0(VALU_DEP_3) | instskip(SKIP_1) | instid1(VALU_DEP_4)
	v_fma_f16 v21, v53, v5, -v21
	v_mul_f16_e32 v5, v55, v5
	v_fmac_f16_e32 v22, v52, v24
	s_wait_loadcnt 0x2c
	v_lshrrev_b32_e32 v24, 16, v50
	s_wait_loadcnt 0x2b
	v_lshrrev_b32_e32 v18, 16, v25
	v_fmac_f16_e32 v5, v53, v23
	v_pack_b32_f16 v17, v22, v17
	v_mul_f16_e32 v22, v24, v25
	scratch_store_b32 off, v24, off offset:148 ; 4-byte Folded Spill
	ds_store_2addr_stride64_b32 v58, v3, v17 offset1:2
	v_fma_f16 v22, v50, v18, -v22
	v_mul_f16_e32 v18, v24, v18
	s_wait_loadcnt 0x2a
	v_lshrrev_b32_e32 v23, 16, v48
	s_wait_loadcnt 0x29
	v_lshrrev_b32_e32 v3, 16, v26
	v_fmac_f16_e32 v18, v50, v25
	global_load_b32 v25, v58, s[4:5] offset:10752
	v_mul_f16_e32 v17, v23, v26
	scratch_store_b32 off, v23, off offset:132 ; 4-byte Folded Spill
	v_pack_b32_f16 v18, v18, v22
	s_wait_loadcnt 0x29
	v_lshrrev_b32_e32 v22, 16, v46
	v_fma_f16 v17, v48, v3, -v17
	v_mul_f16_e32 v3, v23, v3
	scratch_store_b32 off, v48, off offset:128 ; 4-byte Folded Spill
	ds_store_2addr_stride64_b32 v58, v6, v18 offset0:12 offset1:14
	s_wait_loadcnt 0x28
	v_mul_f16_e32 v6, v22, v27
	scratch_store_b32 off, v50, off offset:136 ; 4-byte Folded Spill
	v_fmac_f16_e32 v3, v48, v26
	s_clause 0x2
	scratch_store_b32 off, v55, off offset:176
	scratch_store_b32 off, v54, off offset:156
	;; [unrolled: 1-line block ×3, first 2 shown]
	s_wait_loadcnt 0x27
	v_lshrrev_b32_e32 v24, 16, v51
	v_pack_b32_f16 v3, v3, v17
	v_lshrrev_b32_e32 v17, 16, v27
	scratch_store_b32 off, v22, off offset:104 ; 4-byte Folded Spill
	ds_store_2addr_stride64_b32 v58, v0, v3 offset0:24 offset1:26
	v_mul_f16_e32 v18, v22, v17
	v_fma_f16 v0, v46, v17, -v6
	v_pack_b32_f16 v3, v5, v21
	s_clause 0x1
	global_load_b32 v23, v58, s[4:5] offset:14336
	global_load_b32 v22, v58, s[4:5] offset:14848
	s_wait_loadcnt 0x28
	v_lshrrev_b32_e32 v5, 16, v28
	v_fmac_f16_e32 v18, v46, v27
	v_mul_f16_e32 v6, v24, v28
	global_load_b32 v17, v58, s[4:5] offset:13312
	s_load_b128 s[8:11], s[10:11], 0x0
	v_pack_b32_f16 v0, v18, v0
	s_wait_loadcnt 0x28
	v_lshrrev_b32_e32 v18, 16, v44
	v_fma_f16 v6, v51, v5, -v6
	v_mul_f16_e32 v5, v24, v5
	scratch_store_b32 off, v51, off offset:160 ; 4-byte Folded Spill
	ds_store_2addr_stride64_b32 v58, v3, v0 offset0:36 offset1:38
	scratch_store_b32 off, v18, off offset:92 ; 4-byte Folded Spill
	s_wait_loadcnt 0x27
	v_lshrrev_b32_e32 v0, 16, v29
	v_mul_f16_e32 v3, v18, v29
	v_fmac_f16_e32 v5, v51, v28
	s_delay_alu instid0(VALU_DEP_2)
	v_fma_f16 v3, v44, v0, -v3
	v_mul_f16_e32 v0, v18, v0
	s_wait_loadcnt 0x26
	v_lshrrev_b32_e32 v18, 16, v172
	v_pack_b32_f16 v5, v5, v6
	s_wait_loadcnt 0x24
	v_lshrrev_b32_e32 v6, 16, v31
	s_wait_loadcnt 0x16
	scratch_store_b32 off, v45, off offset:96 ; 4-byte Folded Spill
	v_fmac_f16_e32 v0, v44, v29
	s_delay_alu instid0(VALU_DEP_1)
	v_pack_b32_f16 v0, v0, v3
	v_mul_f16_e32 v3, v18, v31
	ds_store_2addr_stride64_b32 v58, v5, v0 offset0:48 offset1:50
	v_fma_f16 v3, v172, v6, -v3
	v_mul_f16_e32 v6, v18, v6
	v_lshrrev_b32_e32 v18, 16, v43
	v_lshrrev_b32_e32 v0, 16, v19
	s_delay_alu instid0(VALU_DEP_3) | instskip(NEXT) | instid1(VALU_DEP_3)
	v_fmac_f16_e64 v6, v172, v31
	v_mul_f16_e32 v5, v18, v19
	scratch_store_b32 off, v18, off offset:80 ; 4-byte Folded Spill
	v_pack_b32_f16 v3, v6, v3
	v_fma_f16 v5, v43, v0, -v5
	v_mul_f16_e32 v0, v18, v0
	v_lshrrev_b32_e32 v18, 16, v49
	v_lshrrev_b32_e32 v6, 16, v20
	s_delay_alu instid0(VALU_DEP_3)
	v_fmac_f16_e32 v0, v43, v19
	scratch_store_b32 off, v18, off offset:144 ; 4-byte Folded Spill
	v_pack_b32_f16 v0, v0, v5
	v_mul_f16_e32 v5, v18, v20
	ds_store_2addr_stride64_b32 v58, v0, v3 offset0:4 offset1:6
	v_fma_f16 v5, v49, v6, -v5
	v_mul_f16_e32 v6, v18, v6
	v_lshrrev_b32_e32 v18, 16, v42
	v_lshrrev_b32_e32 v0, 16, v13
	s_delay_alu instid0(VALU_DEP_3) | instskip(NEXT) | instid1(VALU_DEP_3)
	v_fmac_f16_e32 v6, v49, v20
	v_mul_f16_e32 v3, v18, v13
	s_delay_alu instid0(VALU_DEP_2) | instskip(NEXT) | instid1(VALU_DEP_2)
	v_pack_b32_f16 v5, v6, v5
	v_fma_f16 v3, v42, v0, -v3
	v_mul_f16_e32 v0, v18, v0
	v_lshrrev_b32_e32 v6, 16, v30
	s_delay_alu instid0(VALU_DEP_2) | instskip(SKIP_1) | instid1(VALU_DEP_2)
	v_fmac_f16_e32 v0, v42, v13
	v_lshrrev_b32_e32 v13, 16, v178
	v_pack_b32_f16 v0, v0, v3
	s_delay_alu instid0(VALU_DEP_2)
	v_mul_f16_e32 v3, v13, v30
	ds_store_2addr_stride64_b32 v58, v5, v0 offset0:8 offset1:10
	v_fma_f16 v3, v178, v6, -v3
	v_mul_f16_e32 v6, v13, v6
	v_lshrrev_b32_e32 v13, 16, v41
	v_lshrrev_b32_e32 v0, 16, v14
	s_delay_alu instid0(VALU_DEP_3) | instskip(NEXT) | instid1(VALU_DEP_3)
	v_fmac_f16_e64 v6, v178, v30
	v_mul_f16_e32 v5, v13, v14
	scratch_store_b32 off, v13, off offset:60 ; 4-byte Folded Spill
	v_pack_b32_f16 v3, v6, v3
	v_fma_f16 v5, v41, v0, -v5
	v_mul_f16_e32 v0, v13, v0
	v_lshrrev_b32_e32 v13, 16, v47
	s_wait_loadcnt 0xf
	v_lshrrev_b32_e32 v6, 16, v15
	scratch_store_b32 off, v47, off offset:120 ; 4-byte Folded Spill
	v_fmac_f16_e32 v0, v41, v14
	scratch_store_b32 off, v13, off offset:124 ; 4-byte Folded Spill
	v_pack_b32_f16 v0, v0, v5
	v_mul_f16_e32 v5, v13, v15
	ds_store_2addr_stride64_b32 v58, v0, v3 offset0:16 offset1:18
	v_fma_f16 v5, v47, v6, -v5
	v_mul_f16_e32 v6, v13, v6
	v_lshrrev_b32_e32 v13, 16, v40
	s_wait_loadcnt 0xb
	v_lshrrev_b32_e32 v0, 16, v9
	s_delay_alu instid0(VALU_DEP_3) | instskip(NEXT) | instid1(VALU_DEP_3)
	v_fmac_f16_e32 v6, v47, v15
	v_mul_f16_e32 v3, v13, v9
	s_delay_alu instid0(VALU_DEP_2) | instskip(NEXT) | instid1(VALU_DEP_2)
	v_pack_b32_f16 v5, v6, v5
	v_fma_f16 v3, v40, v0, -v3
	v_mul_f16_e32 v0, v13, v0
	v_lshrrev_b32_e32 v6, 16, v32
	s_delay_alu instid0(VALU_DEP_2) | instskip(SKIP_1) | instid1(VALU_DEP_2)
	v_fmac_f16_e32 v0, v40, v9
	v_lshrrev_b32_e32 v9, 16, v219
	v_pack_b32_f16 v0, v0, v3
	s_delay_alu instid0(VALU_DEP_2)
	v_mul_f16_e32 v3, v9, v32
	ds_store_2addr_stride64_b32 v58, v5, v0 offset0:20 offset1:22
	v_fma_f16 v3, v219, v6, -v3
	v_mul_f16_e32 v6, v9, v6
	v_lshrrev_b32_e32 v9, 16, v39
	s_wait_loadcnt 0xa
	v_lshrrev_b32_e32 v0, 16, v10
	s_clause 0x1
	scratch_store_b32 off, v46, off offset:108
	scratch_store_b32 off, v18, off offset:68
	v_fmac_f16_e64 v6, v219, v32
	scratch_store_b32 off, v9, off offset:44 ; 4-byte Folded Spill
	v_mul_f16_e32 v5, v9, v10
	v_pack_b32_f16 v3, v6, v3
	v_lshrrev_b32_e32 v6, 16, v16
	s_delay_alu instid0(VALU_DEP_3) | instskip(SKIP_1) | instid1(VALU_DEP_1)
	v_fma_f16 v5, v39, v0, -v5
	v_mul_f16_e32 v0, v9, v0
	v_fmac_f16_e32 v0, v39, v10
	s_delay_alu instid0(VALU_DEP_1)
	v_pack_b32_f16 v0, v0, v5
	ds_store_2addr_stride64_b32 v58, v0, v3 offset0:28 offset1:30
	s_wait_loadcnt 0x9
	v_lshrrev_b32_e32 v0, 16, v11
	s_wait_loadcnt 0x4
	v_lshrrev_b32_e32 v9, 16, v35
	s_delay_alu instid0(VALU_DEP_1)
	v_mul_f16_e32 v5, v9, v16
	scratch_store_b32 off, v9, off offset:116 ; 4-byte Folded Spill
	v_fma_f16 v5, v35, v6, -v5
	v_mul_f16_e32 v6, v9, v6
	v_lshrrev_b32_e32 v9, 16, v38
	s_clause 0x1
	scratch_store_b32 off, v44, off offset:88
	scratch_store_b32 off, v41, off offset:56
	v_fmac_f16_e32 v6, v35, v16
	scratch_store_b32 off, v9, off offset:36 ; 4-byte Folded Spill
	v_mul_f16_e32 v3, v9, v11
	v_pack_b32_f16 v5, v6, v5
	v_lshrrev_b32_e32 v6, 16, v33
	s_delay_alu instid0(VALU_DEP_3) | instskip(SKIP_1) | instid1(VALU_DEP_1)
	v_fma_f16 v3, v38, v0, -v3
	v_mul_f16_e32 v0, v9, v0
	v_fmac_f16_e32 v0, v38, v11
	s_delay_alu instid0(VALU_DEP_1)
	v_pack_b32_f16 v0, v0, v3
	ds_store_2addr_stride64_b32 v58, v5, v0 offset0:32 offset1:34
	v_lshrrev_b32_e32 v0, 16, v12
	s_wait_loadcnt 0x3
	v_lshrrev_b32_e32 v9, 16, v25
	s_clause 0x1
	scratch_store_b32 off, v25, off offset:184
	scratch_store_b32 off, v9, off offset:188
	v_mul_f16_e32 v3, v9, v33
	s_delay_alu instid0(VALU_DEP_1)
	v_fma_f16 v3, v25, v6, -v3
	v_mul_f16_e32 v6, v9, v6
	v_lshrrev_b32_e32 v9, 16, v37
	s_clause 0x1
	scratch_store_b32 off, v43, off offset:72
	scratch_store_b32 off, v40, off offset:48
	v_fmac_f16_e32 v6, v25, v33
	scratch_store_b32 off, v9, off offset:28 ; 4-byte Folded Spill
	v_mul_f16_e32 v5, v9, v12
	v_pack_b32_f16 v3, v6, v3
	v_lshrrev_b32_e32 v6, 16, v7
	s_delay_alu instid0(VALU_DEP_3) | instskip(SKIP_2) | instid1(VALU_DEP_2)
	v_fma_f16 v5, v37, v0, -v5
	v_mul_f16_e32 v0, v9, v0
	v_lshrrev_b32_e32 v9, 16, v45
	v_fmac_f16_e32 v0, v37, v12
	s_delay_alu instid0(VALU_DEP_1) | instskip(NEXT) | instid1(VALU_DEP_3)
	v_pack_b32_f16 v0, v0, v5
	v_mul_f16_e32 v5, v9, v7
	ds_store_2addr_stride64_b32 v58, v0, v3 offset0:40 offset1:42
	v_fma_f16 v5, v45, v6, -v5
	v_mul_f16_e32 v6, v9, v6
	v_lshrrev_b32_e32 v0, 16, v1
	s_delay_alu instid0(VALU_DEP_2)
	v_fmac_f16_e32 v6, v45, v7
	v_lshrrev_b32_e32 v7, 16, v36
	s_clause 0x2
	scratch_store_b32 off, v13, off offset:52
	scratch_store_b32 off, v38, off offset:32
	;; [unrolled: 1-line block ×3, first 2 shown]
	v_mul_f16_e32 v3, v7, v1
	s_delay_alu instid0(VALU_DEP_1)
	v_fma_f16 v3, v36, v0, -v3
	v_mul_f16_e32 v0, v7, v0
	global_load_b32 v7, v58, s[4:5] offset:13824
	scratch_store_b32 off, v49, off offset:140 ; 4-byte Folded Spill
	v_fmac_f16_e32 v0, v36, v1
	v_pack_b32_f16 v1, v6, v5
	s_wait_loadcnt 0x3
	v_lshrrev_b32_e32 v6, 16, v23
	s_clause 0x2
	scratch_store_b32 off, v23, off offset:76
	scratch_store_b32 off, v24, off offset:164
	;; [unrolled: 1-line block ×3, first 2 shown]
	v_pack_b32_f16 v0, v0, v3
	scratch_store_b32 off, v6, off offset:84 ; 4-byte Folded Spill
	v_lshrrev_b32_e32 v3, 16, v34
	s_wait_loadcnt 0x2
	v_lshrrev_b32_e32 v9, 16, v22
	scratch_store_b32 off, v22, off         ; 4-byte Folded Spill
	ds_store_2addr_stride64_b32 v58, v1, v0 offset0:44 offset1:46
	scratch_store_b32 off, v9, off offset:4 ; 4-byte Folded Spill
	s_wait_loadcnt 0x0
	v_lshrrev_b32_e32 v5, 16, v7
	s_clause 0x2
	scratch_store_b32 off, v35, off offset:112
	scratch_store_b32 off, v7, off offset:172
	;; [unrolled: 1-line block ×3, first 2 shown]
	v_mul_f16_e32 v0, v5, v34
	v_mul_f16_e32 v1, v5, v3
	;; [unrolled: 1-line block ×3, first 2 shown]
	s_delay_alu instid0(VALU_DEP_3) | instskip(SKIP_1) | instid1(VALU_DEP_4)
	v_fma_f16 v0, v7, v3, -v0
	v_lshrrev_b32_e32 v3, 16, v8
	v_fmac_f16_e32 v1, v7, v34
	s_delay_alu instid0(VALU_DEP_2) | instskip(SKIP_2) | instid1(VALU_DEP_4)
	v_fma_f16 v5, v23, v3, -v5
	v_mul_f16_e32 v3, v6, v3
	v_lshrrev_b32_e32 v6, 16, v2
	v_pack_b32_f16 v0, v1, v0
	s_delay_alu instid0(VALU_DEP_3)
	v_fmac_f16_e32 v3, v23, v8
	v_lshrrev_b32_e32 v8, 16, v17
	s_clause 0x5
	scratch_store_b32 off, v17, off offset:8
	scratch_store_b32 off, v42, off offset:64
	;; [unrolled: 1-line block ×6, first 2 shown]
	v_mul_f16_e32 v7, v8, v2
	v_pack_b32_f16 v1, v3, v5
	s_delay_alu instid0(VALU_DEP_2) | instskip(SKIP_2) | instid1(VALU_DEP_2)
	v_fma_f16 v7, v17, v6, -v7
	v_mul_f16_e32 v6, v8, v6
	v_mul_f16_e32 v8, v9, v4
	v_fmac_f16_e32 v6, v17, v2
	v_lshrrev_b32_e32 v2, 16, v4
	s_delay_alu instid0(VALU_DEP_2) | instskip(NEXT) | instid1(VALU_DEP_2)
	v_pack_b32_f16 v3, v6, v7
	v_fma_f16 v8, v22, v2, -v8
	v_mul_f16_e32 v2, v9, v2
	s_delay_alu instid0(VALU_DEP_1) | instskip(NEXT) | instid1(VALU_DEP_1)
	v_fmac_f16_e32 v2, v22, v4
	v_pack_b32_f16 v2, v2, v8
	ds_store_2addr_stride64_b32 v58, v3, v0 offset0:52 offset1:54
	ds_store_2addr_stride64_b32 v58, v1, v2 offset0:56 offset1:58
	global_wb scope:SCOPE_SE
	s_wait_storecnt_dscnt 0x0
	s_wait_kmcnt 0x0
	s_barrier_signal -1
	s_barrier_wait -1
	global_inv scope:SCOPE_SE
	ds_load_2addr_stride64_b32 v[3:4], v58 offset0:12 offset1:14
	ds_load_2addr_stride64_b32 v[5:6], v58 offset0:24 offset1:26
	;; [unrolled: 1-line block ×8, first 2 shown]
	s_wait_dscnt 0x7
	v_lshrrev_b32_e32 v30, 16, v3
	s_wait_dscnt 0x6
	v_sub_f16_e32 v0, v3, v5
	s_wait_dscnt 0x4
	v_sub_f16_e32 v1, v15, v17
	v_lshrrev_b32_e32 v33, 16, v5
	v_lshrrev_b32_e32 v32, 16, v17
	;; [unrolled: 1-line block ×3, first 2 shown]
	s_wait_dscnt 0x3
	v_lshrrev_b32_e32 v39, 16, v8
	v_add_f16_e32 v21, v0, v1
	s_wait_dscnt 0x2
	v_sub_f16_e32 v0, v8, v14
	s_wait_dscnt 0x0
	v_sub_f16_e32 v1, v10, v12
	v_lshrrev_b32_e32 v41, 16, v14
	v_lshrrev_b32_e32 v40, 16, v12
	;; [unrolled: 1-line block ×3, first 2 shown]
	v_sub_f16_e32 v29, v8, v10
	v_add_f16_e32 v22, v0, v1
	v_sub_f16_e32 v0, v30, v33
	v_sub_f16_e32 v1, v34, v32
	;; [unrolled: 1-line block ×6, first 2 shown]
	v_add_f16_e32 v23, v0, v1
	v_sub_f16_e32 v0, v39, v41
	v_sub_f16_e32 v1, v42, v40
	;; [unrolled: 1-line block ×3, first 2 shown]
	s_delay_alu instid0(VALU_DEP_2) | instskip(SKIP_3) | instid1(VALU_DEP_1)
	v_add_f16_e32 v25, v0, v1
	ds_load_2addr_stride64_b32 v[1:2], v58 offset0:4 offset1:6
	v_add_f16_e32 v0, v14, v12
	s_wait_dscnt 0x0
	v_fma_f16 v24, -0.5, v0, v2
	v_lshrrev_b32_e32 v37, 16, v2
	v_add_f16_e32 v0, v41, v40
	v_add_f16_e32 v36, v2, v8
	s_delay_alu instid0(VALU_DEP_4) | instskip(SKIP_1) | instid1(VALU_DEP_4)
	v_fmamk_f16 v19, v28, 0x3b9c, v24
	v_fmac_f16_e32 v24, 0xbb9c, v28
	v_fma_f16 v26, -0.5, v0, v37
	v_sub_f16_e32 v0, v14, v12
	v_add_f16_e32 v44, v36, v14
	v_fmac_f16_e32 v19, 0x38b4, v27
	v_sub_f16_e32 v14, v14, v8
	v_fmamk_f16 v20, v29, 0xbb9c, v26
	v_fmac_f16_e32 v26, 0x3b9c, v29
	v_add_f16_e32 v48, v44, v12
	v_fmac_f16_e32 v19, 0x34f2, v22
	v_add_f16_e32 v44, v37, v39
	v_fmac_f16_e32 v20, 0xb8b4, v0
	v_sub_f16_e32 v12, v12, v10
	v_fmac_f16_e32 v24, 0xb8b4, v27
	v_mul_f16_e32 v38, 0x3a79, v19
	v_mul_f16_e32 v43, 0xb8b4, v19
	v_fmac_f16_e32 v20, 0x34f2, v25
	v_add_f16_e32 v50, v44, v41
	v_add_f16_e32 v12, v14, v12
	v_fmac_f16_e32 v26, 0x38b4, v0
	v_fmac_f16_e32 v24, 0x34f2, v22
	;; [unrolled: 1-line block ×4, first 2 shown]
	ds_load_2addr_stride64_b32 v[19:20], v58 offset1:2
	v_fmac_f16_e32 v26, 0x34f2, v25
	s_wait_dscnt 0x0
	v_add_f16_e32 v31, v19, v3
	s_delay_alu instid0(VALU_DEP_1) | instskip(SKIP_1) | instid1(VALU_DEP_2)
	v_add_f16_e32 v35, v31, v5
	v_add_f16_e32 v31, v5, v17
	;; [unrolled: 1-line block ×3, first 2 shown]
	v_lshrrev_b32_e32 v35, 16, v19
	s_delay_alu instid0(VALU_DEP_3) | instskip(NEXT) | instid1(VALU_DEP_3)
	v_fma_f16 v31, -0.5, v31, v19
	v_add_f16_e32 v44, v45, v15
	s_delay_alu instid0(VALU_DEP_3)
	v_add_f16_e32 v36, v35, v30
	v_add_f16_e32 v45, v48, v10
	;; [unrolled: 1-line block ×3, first 2 shown]
	v_sub_f16_e32 v50, v5, v17
	v_sub_f16_e32 v5, v5, v3
	v_add_f16_e32 v47, v36, v33
	v_sub_f16_e32 v17, v17, v15
	v_add_f16_e32 v3, v3, v15
	v_add_f16_e32 v36, v33, v32
	v_fmamk_f16 v52, v49, 0x3b9c, v31
	v_add_f16_e32 v47, v47, v32
	v_add_f16_e32 v5, v5, v17
	v_sub_f16_e32 v17, v33, v30
	v_add_f16_e32 v30, v30, v34
	v_sub_f16_e32 v32, v32, v34
	v_add_f16_e32 v47, v47, v34
	v_add_f16_e32 v34, v39, v42
	v_fma_f16 v19, -0.5, v3, v19
	v_add_f16_e32 v3, v8, v10
	v_fma_f16 v36, -0.5, v36, v35
	v_sub_f16_e32 v33, v41, v39
	v_fmac_f16_e32 v37, -0.5, v34
	v_fmamk_f16 v15, v46, 0xbb9c, v19
	v_fmac_f16_e32 v19, 0x3b9c, v46
	v_fma_f16 v2, -0.5, v3, v2
	v_sub_f16_e32 v39, v40, v42
	v_fmac_f16_e32 v35, -0.5, v30
	v_fmac_f16_e32 v15, 0x38b4, v49
	v_fmac_f16_e32 v19, 0xb8b4, v49
	v_fmamk_f16 v3, v27, 0xbb9c, v2
	v_fmac_f16_e32 v2, 0x3b9c, v27
	v_fmamk_f16 v8, v0, 0x3b9c, v37
	v_fmac_f16_e32 v37, 0xbb9c, v0
	v_add_f16_e32 v14, v17, v32
	v_add_f16_e32 v17, v33, v39
	v_fmac_f16_e32 v15, 0x34f2, v5
	v_fmac_f16_e32 v19, 0x34f2, v5
	;; [unrolled: 1-line block ×4, first 2 shown]
	v_fmamk_f16 v5, v50, 0x3b9c, v35
	v_fmac_f16_e32 v35, 0xbb9c, v50
	v_fmac_f16_e32 v37, 0x38b4, v29
	;; [unrolled: 1-line block ×8, first 2 shown]
	v_mul_f16_e32 v10, 0xb4f2, v2
	v_fmac_f16_e32 v5, 0x34f2, v14
	v_fmac_f16_e32 v35, 0x34f2, v14
	;; [unrolled: 1-line block ×3, first 2 shown]
	v_mul_f16_e32 v12, 0xb4f2, v37
	v_mul_f16_e32 v14, 0xbb9c, v3
	v_fmamk_f16 v53, v51, 0xbb9c, v36
	v_fmac_f16_e32 v10, 0x3b9c, v37
	v_fmac_f16_e32 v52, 0x38b4, v46
	;; [unrolled: 1-line block ×4, first 2 shown]
	v_mul_f16_e32 v8, 0x3b9c, v8
	v_fmac_f16_e32 v53, 0xb8b4, v50
	v_add_f16_e32 v2, v19, v10
	v_fmac_f16_e32 v52, 0x34f2, v21
	v_fmac_f16_e32 v31, 0xbb9c, v49
	;; [unrolled: 1-line block ×3, first 2 shown]
	v_add_f16_e32 v3, v35, v12
	v_fmac_f16_e32 v53, 0x34f2, v23
	v_fmac_f16_e32 v36, 0x3b9c, v51
	v_add_f16_e32 v48, v48, v42
	v_add_f16_e32 v17, v15, v8
	v_pack_b32_f16 v3, v2, v3
	v_add_f16_e32 v2, v5, v14
	v_sub_f16_e32 v30, v53, v43
	v_sub_f16_e32 v5, v5, v14
	;; [unrolled: 1-line block ×3, first 2 shown]
	v_fmac_f16_e32 v31, 0xb8b4, v46
	v_pack_b32_f16 v2, v17, v2
	v_sub_f16_e32 v17, v52, v38
	v_fmac_f16_e32 v36, 0x38b4, v50
	v_pack_b32_f16 v15, v8, v5
	v_mul_f16_e32 v8, 0xba79, v24
	v_fmac_f16_e32 v31, 0x34f2, v21
	v_pack_b32_f16 v14, v17, v30
	v_mul_f16_e32 v17, 0xba79, v26
	v_sub_f16_e32 v0, v44, v45
	v_fmac_f16_e32 v36, 0x34f2, v23
	v_sub_f16_e32 v5, v47, v48
	v_fmac_f16_e32 v8, 0x38b4, v26
	v_fmac_f16_e32 v17, 0xb8b4, v24
	v_add_f16_e32 v54, v44, v45
	v_add_f16_e32 v55, v47, v48
	v_pack_b32_f16 v22, v0, v5
	v_add_f16_e32 v0, v31, v8
	v_add_f16_e32 v5, v36, v17
	;; [unrolled: 1-line block ×3, first 2 shown]
	v_pack_b32_f16 v54, v54, v55
	v_add_f16_e32 v55, v52, v38
	ds_load_2addr_stride64_b32 v[23:24], v58 offset0:8 offset1:10
	ds_load_2addr_stride64_b32 v[25:26], v58 offset0:20 offset1:22
	;; [unrolled: 1-line block ×5, first 2 shown]
	v_pack_b32_f16 v21, v0, v5
	v_mul_u32_u24_e32 v0, 10, v228
	global_wb scope:SCOPE_SE
	s_wait_dscnt 0x0
	v_pack_b32_f16 v55, v55, v56
	s_barrier_signal -1
	s_barrier_wait -1
	v_lshlrev_b32_e32 v105, 2, v0
	global_inv scope:SCOPE_SE
	ds_store_2addr_b64 v105, v[54:55], v[2:3] offset1:1
	ds_store_2addr_b64 v105, v[21:22], v[14:15] offset0:2 offset1:3
	v_sub_f16_e32 v0, v19, v10
	v_sub_f16_e32 v2, v31, v8
	v_sub_f16_e32 v3, v36, v17
	v_sub_f16_e32 v5, v35, v12
	v_lshrrev_b32_e32 v10, 16, v18
	v_add_f16_e32 v17, v4, v16
	v_sub_f16_e32 v8, v4, v6
	v_pack_b32_f16 v3, v2, v3
	v_pack_b32_f16 v2, v0, v5
	v_add_f16_e32 v0, v20, v4
	v_lshrrev_b32_e32 v5, 16, v6
	v_sub_f16_e32 v12, v16, v18
	v_sub_f16_e32 v14, v18, v16
	ds_store_b64 v105, v[2:3] offset:32
	v_add_f16_e32 v0, v0, v6
	v_add_f16_e32 v2, v6, v18
	v_sub_f16_e32 v3, v6, v4
	v_sub_f16_e32 v6, v6, v18
	v_lshrrev_b32_e32 v15, 16, v4
	v_add_f16_e32 v0, v0, v18
	v_sub_f16_e32 v18, v4, v16
	v_lshrrev_b32_e32 v4, 16, v16
	v_fma_f16 v19, -0.5, v2, v20
	v_lshrrev_b32_e32 v21, 16, v20
	v_add_f16_e32 v0, v0, v16
	v_fmac_f16_e32 v20, -0.5, v17
	v_sub_f16_e32 v16, v5, v10
	v_add_f16_e32 v2, v3, v14
	v_sub_f16_e32 v17, v15, v4
	v_add_f16_e32 v22, v21, v15
	v_sub_f16_e32 v3, v10, v4
	v_fmamk_f16 v14, v16, 0xbb9c, v20
	v_fmac_f16_e32 v20, 0x3b9c, v16
	v_lshrrev_b32_e32 v35, 16, v27
	v_lshrrev_b32_e32 v36, 16, v29
	;; [unrolled: 1-line block ×3, first 2 shown]
	v_fmac_f16_e32 v14, 0x38b4, v17
	v_fmac_f16_e32 v20, 0xb8b4, v17
	v_lshrrev_b32_e32 v39, 16, v32
	v_add_f16_e32 v8, v8, v12
	v_add_f16_e32 v12, v22, v5
	v_fmac_f16_e32 v14, 0x34f2, v2
	v_fmac_f16_e32 v20, 0x34f2, v2
	v_add_f16_e32 v2, v5, v10
	v_add_f16_e32 v37, v35, v36
	;; [unrolled: 1-line block ×4, first 2 shown]
	v_sub_f16_e32 v10, v4, v10
	v_fma_f16 v31, -0.5, v2, v21
	v_add_f16_e32 v2, v15, v4
	v_sub_f16_e32 v42, v35, v36
	v_add_f16_e32 v12, v12, v4
	v_sub_f16_e32 v4, v25, v27
	v_sub_f16_e32 v44, v38, v39
	v_fmac_f16_e32 v21, -0.5, v2
	v_sub_f16_e32 v2, v5, v15
	v_sub_f16_e32 v5, v15, v5
	;; [unrolled: 1-line block ×4, first 2 shown]
	v_fmamk_f16 v34, v6, 0x3b9c, v21
	v_fmac_f16_e32 v21, 0xbb9c, v6
	v_add_f16_e32 v2, v2, v3
	v_sub_f16_e32 v3, v29, v32
	v_add_f16_e32 v10, v5, v10
	v_fmac_f16_e32 v34, 0xb8b4, v18
	v_fmac_f16_e32 v21, 0x38b4, v18
	v_sub_f16_e32 v5, v32, v29
	v_sub_f16_e32 v47, v25, v32
	s_delay_alu instid0(VALU_DEP_4) | instskip(NEXT) | instid1(VALU_DEP_4)
	v_fmac_f16_e32 v34, 0x34f2, v2
	v_fmac_f16_e32 v21, 0x34f2, v2
	v_sub_f16_e32 v2, v27, v25
	v_add_f16_e32 v22, v4, v5
	v_sub_f16_e32 v5, v38, v35
	s_delay_alu instid0(VALU_DEP_3) | instskip(SKIP_1) | instid1(VALU_DEP_1)
	v_add_f16_e32 v2, v2, v3
	v_lshrrev_b32_e32 v3, 16, v23
	v_fma_f16 v37, -0.5, v37, v3
	v_add_f16_e32 v41, v3, v38
	v_fmac_f16_e32 v3, -0.5, v40
	v_add_f16_e32 v40, v25, v32
	s_delay_alu instid0(VALU_DEP_3) | instskip(SKIP_1) | instid1(VALU_DEP_3)
	v_add_f16_e32 v4, v41, v35
	v_fmamk_f16 v41, v17, 0x3b9c, v19
	v_fma_f16 v40, -0.5, v40, v23
	v_fmac_f16_e32 v19, 0xbb9c, v17
	s_delay_alu instid0(VALU_DEP_4) | instskip(NEXT) | instid1(VALU_DEP_4)
	v_add_f16_e32 v4, v4, v36
	v_fmac_f16_e32 v41, 0x38b4, v16
	s_delay_alu instid0(VALU_DEP_4)
	v_fmamk_f16 v43, v42, 0xbb9c, v40
	v_fmac_f16_e32 v40, 0x3b9c, v42
	v_fmac_f16_e32 v19, 0xb8b4, v16
	v_add_f16_e32 v36, v4, v39
	v_add_f16_e32 v4, v27, v29
	v_fmac_f16_e32 v43, 0x38b4, v44
	v_fmac_f16_e32 v40, 0xb8b4, v44
	;; [unrolled: 1-line block ×4, first 2 shown]
	s_delay_alu instid0(VALU_DEP_4) | instskip(NEXT) | instid1(VALU_DEP_4)
	v_fmac_f16_e32 v43, 0x34f2, v2
	v_fmac_f16_e32 v40, 0x34f2, v2
	v_sub_f16_e32 v2, v35, v38
	v_fma_f16 v38, -0.5, v4, v23
	v_add_f16_e32 v35, v5, v15
	v_fmamk_f16 v5, v47, 0xbb9c, v37
	v_fmac_f16_e32 v37, 0x3b9c, v47
	v_add_f16_e32 v2, v2, v45
	v_sub_f16_e32 v45, v27, v29
	v_fmamk_f16 v4, v44, 0x3b9c, v38
	v_fmac_f16_e32 v38, 0xbb9c, v44
	v_mul_f16_e32 v48, 0xb4f2, v40
	s_delay_alu instid0(VALU_DEP_4)
	v_fmamk_f16 v46, v45, 0x3b9c, v3
	v_fmac_f16_e32 v3, 0xbb9c, v45
	v_fmac_f16_e32 v4, 0x38b4, v42
	;; [unrolled: 1-line block ×11, first 2 shown]
	v_mul_f16_e32 v15, 0x3a79, v4
	v_mul_f16_e32 v39, 0xb8b4, v4
	v_add_f16_e32 v4, v23, v25
	v_fmamk_f16 v23, v18, 0xbb9c, v31
	v_mul_f16_e32 v49, 0xb4f2, v3
	v_fmac_f16_e32 v15, 0x38b4, v5
	v_fmac_f16_e32 v39, 0x3a79, v5
	v_add_f16_e32 v4, v4, v27
	v_fmac_f16_e32 v23, 0xb8b4, v6
	v_fmac_f16_e32 v49, 0xbb9c, v40
	v_mul_f16_e32 v40, 0x3b9c, v46
	v_fmac_f16_e32 v31, 0x3b9c, v18
	v_add_f16_e32 v4, v4, v29
	v_fmac_f16_e32 v23, 0x34f2, v10
	v_fmac_f16_e32 v38, 0x34f2, v22
	;; [unrolled: 1-line block ×5, first 2 shown]
	v_mul_f16_e32 v43, 0xbb9c, v43
	v_add_f16_e32 v25, v4, v32
	v_add_f16_e32 v4, v41, v15
	;; [unrolled: 1-line block ×3, first 2 shown]
	v_fmac_f16_e32 v31, 0x38b4, v6
	v_mul_f16_e32 v6, 0xba79, v38
	v_mul_f16_e32 v8, 0xba79, v37
	v_fmac_f16_e32 v43, 0x34f2, v46
	v_add_f16_e32 v2, v20, v48
	v_add_f16_e32 v3, v21, v49
	v_pack_b32_f16 v5, v4, v5
	v_add_f16_e32 v4, v0, v25
	v_fmac_f16_e32 v31, 0x34f2, v10
	v_sub_f16_e32 v0, v0, v25
	v_sub_f16_e32 v10, v12, v36
	v_or_b32_e32 v22, 0x80, v228
	v_add_f16_e32 v27, v12, v36
	v_fmac_f16_e32 v6, 0x38b4, v37
	v_fmac_f16_e32 v8, 0xb8b4, v38
	v_pack_b32_f16 v3, v2, v3
	v_add_f16_e32 v2, v14, v40
	v_add_f16_e32 v46, v34, v43
	v_pack_b32_f16 v17, v0, v10
	v_mul_u32_u24_e32 v0, 10, v22
	v_pack_b32_f16 v4, v4, v27
	v_sub_f16_e32 v15, v41, v15
	v_sub_f16_e32 v27, v14, v40
	;; [unrolled: 1-line block ×4, first 2 shown]
	v_add_f16_e32 v12, v19, v6
	v_add_f16_e32 v16, v31, v8
	v_pack_b32_f16 v2, v2, v46
	v_lshlrev_b32_e32 v106, 2, v0
	v_pack_b32_f16 v14, v15, v14
	v_pack_b32_f16 v15, v27, v23
	;; [unrolled: 1-line block ×3, first 2 shown]
	ds_store_2addr_b64 v106, v[4:5], v[2:3] offset1:1
	ds_store_2addr_b64 v106, v[16:17], v[14:15] offset0:2 offset1:3
	v_sub_f16_e32 v0, v20, v48
	v_sub_f16_e32 v2, v19, v6
	;; [unrolled: 1-line block ×6, first 2 shown]
	v_lshrrev_b32_e32 v6, 16, v11
	v_pack_b32_f16 v3, v2, v3
	v_pack_b32_f16 v2, v0, v4
	v_add_f16_e32 v0, v1, v7
	v_lshrrev_b32_e32 v4, 16, v13
	v_sub_f16_e32 v10, v9, v11
	v_lshrrev_b32_e32 v12, 16, v7
	ds_store_b64 v106, v[2:3] offset:32
	v_add_f16_e32 v0, v0, v13
	v_add_f16_e32 v2, v13, v11
	v_sub_f16_e32 v3, v13, v7
	v_add_f16_e32 v13, v7, v9
	v_sub_f16_e32 v14, v7, v9
	v_add_f16_e32 v0, v0, v11
	v_sub_f16_e32 v11, v11, v9
	v_lshrrev_b32_e32 v7, 16, v9
	v_add_f16_e32 v16, v28, v30
	v_sub_f16_e32 v19, v28, v30
	v_add_f16_e32 v0, v0, v9
	v_add_f16_e32 v9, v24, v26
	v_lshrrev_b32_e32 v20, 16, v30
	v_sub_f16_e32 v21, v33, v30
	v_sub_f16_e32 v23, v30, v33
	v_lshrrev_b32_e32 v31, 16, v1
	v_add_f16_e32 v9, v9, v28
	v_sub_f16_e32 v29, v12, v7
	v_lshrrev_b32_e32 v15, 16, v28
	v_sub_f16_e32 v17, v26, v28
	v_sub_f16_e32 v18, v28, v26
	v_add_f16_e32 v9, v9, v30
	v_fma_f16 v30, -0.5, v2, v1
	v_fmac_f16_e32 v1, -0.5, v13
	v_add_f16_e32 v2, v3, v11
	v_sub_f16_e32 v11, v4, v6
	v_lshrrev_b32_e32 v25, 16, v26
	v_add_f16_e32 v27, v26, v33
	v_sub_f16_e32 v26, v26, v33
	v_add_f16_e32 v9, v9, v33
	v_fmamk_f16 v13, v11, 0xbb9c, v1
	v_fmac_f16_e32 v1, 0x3b9c, v11
	v_lshrrev_b32_e32 v28, 16, v33
	v_add_f16_e32 v33, v31, v12
	v_sub_f16_e32 v3, v6, v7
	v_fmac_f16_e32 v13, 0x38b4, v29
	v_fmac_f16_e32 v1, 0xb8b4, v29
	v_add_f16_e32 v10, v5, v10
	v_add_f16_e32 v5, v33, v4
	v_fma_f16 v16, -0.5, v16, v24
	v_fmac_f16_e32 v13, 0x34f2, v2
	v_fmac_f16_e32 v1, 0x34f2, v2
	v_add_f16_e32 v2, v4, v6
	v_sub_f16_e32 v35, v20, v28
	v_add_f16_e32 v5, v5, v6
	v_sub_f16_e32 v6, v7, v6
	v_sub_f16_e32 v37, v25, v28
	v_fma_f16 v32, -0.5, v2, v31
	v_add_f16_e32 v2, v12, v7
	v_add_f16_e32 v17, v17, v21
	v_fmamk_f16 v21, v29, 0x3b9c, v30
	v_fmac_f16_e32 v30, 0xbb9c, v29
	v_or_b32_e32 v29, 0x100, v228
	v_fmac_f16_e32 v31, -0.5, v2
	v_sub_f16_e32 v2, v4, v12
	v_sub_f16_e32 v4, v12, v4
	v_add_f16_e32 v12, v5, v7
	v_sub_f16_e32 v5, v25, v15
	v_fmamk_f16 v34, v8, 0x3b9c, v31
	v_fmac_f16_e32 v31, 0xbb9c, v8
	v_add_f16_e32 v2, v2, v3
	v_add_f16_e32 v3, v18, v23
	;; [unrolled: 1-line block ×3, first 2 shown]
	v_fmac_f16_e32 v34, 0xb8b4, v14
	v_fmac_f16_e32 v31, 0x38b4, v14
	v_add_f16_e32 v23, v25, v28
	v_add_f16_e32 v33, v4, v6
	v_sub_f16_e32 v6, v28, v20
	v_fmac_f16_e32 v34, 0x34f2, v2
	v_fmac_f16_e32 v31, 0x34f2, v2
	v_lshrrev_b32_e32 v2, 16, v24
	v_fmac_f16_e32 v24, -0.5, v27
	v_fmac_f16_e32 v21, 0x38b4, v11
	v_fmac_f16_e32 v30, 0xb8b4, v11
	s_delay_alu instid0(VALU_DEP_4)
	v_fma_f16 v18, -0.5, v18, v2
	v_add_f16_e32 v27, v2, v25
	v_fmac_f16_e32 v2, -0.5, v23
	v_sub_f16_e32 v23, v15, v25
	v_fmamk_f16 v25, v14, 0xbb9c, v32
	v_fmac_f16_e32 v21, 0x34f2, v10
	v_add_f16_e32 v4, v27, v15
	v_fmac_f16_e32 v32, 0x3b9c, v14
	v_add_f16_e32 v23, v23, v35
	v_fmamk_f16 v35, v19, 0x3b9c, v2
	v_fmac_f16_e32 v2, 0xbb9c, v19
	v_add_f16_e32 v4, v4, v20
	v_fmac_f16_e32 v25, 0xb8b4, v8
	v_fmac_f16_e32 v32, 0x38b4, v8
	;; [unrolled: 1-line block ×9, first 2 shown]
	v_sub_f16_e32 v23, v15, v20
	v_add_f16_e32 v20, v4, v28
	v_fmamk_f16 v4, v37, 0x3b9c, v16
	v_add_f16_e32 v15, v5, v6
	v_fmamk_f16 v5, v26, 0xbb9c, v18
	v_fmamk_f16 v36, v23, 0xbb9c, v24
	v_fmac_f16_e32 v24, 0x3b9c, v23
	v_fmac_f16_e32 v4, 0x38b4, v23
	;; [unrolled: 1-line block ×7, first 2 shown]
	v_mul_f16_e32 v38, 0xb4f2, v2
	v_fmac_f16_e32 v36, 0x38b4, v37
	v_fmac_f16_e32 v5, 0x34f2, v15
	;; [unrolled: 1-line block ×3, first 2 shown]
	v_mul_f16_e32 v6, 0x3a79, v4
	v_mul_f16_e32 v7, 0xb8b4, v4
	v_fmac_f16_e32 v16, 0xb8b4, v23
	v_fmac_f16_e32 v18, 0x38b4, v19
	;; [unrolled: 1-line block ×3, first 2 shown]
	v_mul_f16_e32 v24, 0xb4f2, v24
	v_fmac_f16_e32 v36, 0x34f2, v3
	v_mul_f16_e32 v39, 0x3b9c, v35
	v_fmac_f16_e32 v6, 0x38b4, v5
	v_fmac_f16_e32 v7, 0x3a79, v5
	v_fmac_f16_e32 v16, 0x34f2, v17
	v_fmac_f16_e32 v18, 0x34f2, v15
	v_fmac_f16_e32 v24, 0x3b9c, v2
	v_fmac_f16_e32 v39, 0x34f2, v36
	v_mul_f16_e32 v36, 0xbb9c, v36
	v_add_f16_e32 v4, v21, v6
	v_add_f16_e32 v5, v25, v7
	v_mul_f16_e32 v10, 0xba79, v16
	v_mul_f16_e32 v11, 0xba79, v18
	v_fmac_f16_e32 v36, 0x34f2, v35
	v_add_f16_e32 v2, v1, v24
	v_add_f16_e32 v3, v31, v38
	v_pack_b32_f16 v5, v4, v5
	v_add_f16_e32 v4, v0, v9
	v_sub_f16_e32 v0, v0, v9
	v_sub_f16_e32 v9, v12, v20
	v_fmac_f16_e32 v10, 0x38b4, v18
	v_fmac_f16_e32 v11, 0xb8b4, v16
	v_pack_b32_f16 v3, v2, v3
	v_add_f16_e32 v2, v13, v39
	v_add_f16_e32 v35, v34, v36
	;; [unrolled: 1-line block ×3, first 2 shown]
	v_pack_b32_f16 v9, v0, v9
	v_mul_u32_u24_e32 v0, 10, v29
	v_sub_f16_e32 v6, v21, v6
	v_sub_f16_e32 v13, v13, v39
	;; [unrolled: 1-line block ×4, first 2 shown]
	v_add_f16_e32 v8, v30, v10
	v_add_f16_e32 v12, v32, v11
	v_pack_b32_f16 v2, v2, v35
	v_pack_b32_f16 v4, v4, v27
	v_lshlrev_b32_e32 v107, 2, v0
	v_pack_b32_f16 v6, v6, v7
	v_pack_b32_f16 v7, v13, v21
	;; [unrolled: 1-line block ×3, first 2 shown]
	ds_store_2addr_b64 v107, v[4:5], v[2:3] offset1:1
	ds_store_2addr_b64 v107, v[8:9], v[6:7] offset0:2 offset1:3
	v_sub_f16_e32 v0, v1, v24
	v_sub_f16_e32 v1, v30, v10
	;; [unrolled: 1-line block ×4, first 2 shown]
	v_or_b32_e32 v21, 0x200, v228
	s_delay_alu instid0(VALU_DEP_3) | instskip(NEXT) | instid1(VALU_DEP_3)
	v_pack_b32_f16 v1, v1, v2
	v_pack_b32_f16 v0, v0, v3
	ds_store_b64 v107, v[0:1] offset:32
	v_mul_u32_u24_e32 v0, 0x199a, v21
	global_wb scope:SCOPE_SE
	s_wait_dscnt 0x0
	s_barrier_signal -1
	s_barrier_wait -1
	global_inv scope:SCOPE_SE
	v_lshrrev_b32_e32 v30, 16, v0
	s_delay_alu instid0(VALU_DEP_1) | instskip(NEXT) | instid1(VALU_DEP_1)
	v_mul_lo_u16 v0, v30, 10
	v_sub_nc_u16 v31, v21, v0
	s_delay_alu instid0(VALU_DEP_1) | instskip(NEXT) | instid1(VALU_DEP_1)
	v_mul_lo_u16 v0, v31, 20
	v_and_b32_e32 v0, 0xffff, v0
	s_delay_alu instid0(VALU_DEP_1)
	v_add_co_u32 v0, s2, s6, v0
	s_wait_alu 0xf1ff
	v_add_co_ci_u32_e64 v1, null, s7, 0, s2
	s_clause 0x1
	global_load_b32 v103, v[0:1], off offset:16
	global_load_b128 v[166:169], v[0:1], off
	ds_load_2addr_stride64_b32 v[23:24], v58 offset0:36 offset1:38
	ds_load_2addr_stride64_b32 v[25:26], v58 offset0:56 offset1:58
	;; [unrolled: 1-line block ×6, first 2 shown]
	s_wait_dscnt 0x5
	v_lshrrev_b32_e32 v0, 16, v24
	s_wait_dscnt 0x1
	v_lshrrev_b32_e32 v17, 16, v11
	s_wait_loadcnt 0x1
	v_lshrrev_b32_e32 v3, 16, v103
	s_wait_loadcnt 0x0
	v_lshrrev_b32_e32 v2, 16, v168
	v_lshrrev_b32_e32 v4, 16, v166
	s_delay_alu instid0(VALU_DEP_3) | instskip(NEXT) | instid1(VALU_DEP_3)
	v_mul_f16_e32 v33, v26, v3
	v_mul_f16_e32 v1, v24, v2
	s_delay_alu instid0(VALU_DEP_3) | instskip(NEXT) | instid1(VALU_DEP_2)
	v_mul_f16_e32 v32, v28, v4
	v_fmac_f16_e64 v1, v0, v168
	v_mul_f16_e32 v0, v0, v2
	v_lshrrev_b32_e32 v2, 16, v26
	s_delay_alu instid0(VALU_DEP_2) | instskip(NEXT) | instid1(VALU_DEP_2)
	v_fma_f16 v0, v24, v168, -v0
	v_fmac_f16_e32 v33, v2, v103
	v_mul_f16_e32 v2, v2, v3
	v_lshrrev_b32_e32 v3, 16, v28
	s_delay_alu instid0(VALU_DEP_2) | instskip(NEXT) | instid1(VALU_DEP_2)
	v_fma_f16 v34, v26, v103, -v2
	v_fmac_f16_e64 v32, v3, v166
	v_mul_f16_e32 v3, v3, v4
	v_lshrrev_b32_e32 v4, 16, v169
	s_delay_alu instid0(VALU_DEP_4) | instskip(NEXT) | instid1(VALU_DEP_4)
	v_add_f16_e32 v2, v0, v34
	v_add_f16_e32 v42, v32, v1
	s_delay_alu instid0(VALU_DEP_4)
	v_fma_f16 v26, v28, v166, -v3
	v_lshrrev_b32_e32 v3, 16, v167
	v_mul_f16_e32 v37, v10, v4
	s_wait_dscnt 0x0
	v_lshrrev_b32_e32 v28, 16, v12
	v_add_f16_e32 v35, v26, v0
	v_fmac_f16_e32 v26, -0.5, v2
	v_lshrrev_b32_e32 v2, 16, v8
	v_mul_f16_e32 v36, v8, v3
	v_sub_f16_e32 v0, v0, v34
	s_delay_alu instid0(VALU_DEP_2) | instskip(SKIP_2) | instid1(VALU_DEP_2)
	v_fmac_f16_e64 v36, v2, v167
	v_mul_f16_e32 v2, v2, v3
	v_lshrrev_b32_e32 v3, 16, v10
	v_fma_f16 v38, v8, v167, -v2
	s_delay_alu instid0(VALU_DEP_2) | instskip(SKIP_1) | instid1(VALU_DEP_3)
	v_fmac_f16_e64 v37, v3, v169
	v_mul_f16_e32 v3, v3, v4
	v_add_f16_e32 v41, v12, v38
	s_delay_alu instid0(VALU_DEP_2) | instskip(SKIP_1) | instid1(VALU_DEP_2)
	v_fma_f16 v39, v10, v169, -v3
	v_lshrrev_b32_e32 v3, 16, v13
	v_add_f16_e32 v2, v38, v39
	s_delay_alu instid0(VALU_DEP_1) | instskip(SKIP_2) | instid1(VALU_DEP_2)
	v_fmac_f16_e32 v12, -0.5, v2
	v_add_f16_e32 v2, v1, v33
	v_sub_f16_e32 v1, v1, v33
	v_fmac_f16_e32 v32, -0.5, v2
	s_delay_alu instid0(VALU_DEP_2) | instskip(SKIP_1) | instid1(VALU_DEP_3)
	v_fmamk_f16 v43, v1, 0x3aee, v26
	v_fmac_f16_e32 v26, 0xbaee, v1
	v_fmamk_f16 v44, v0, 0xbaee, v32
	v_fmac_f16_e32 v32, 0x3aee, v0
	v_sub_f16_e32 v0, v36, v37
	s_delay_alu instid0(VALU_DEP_4) | instskip(NEXT) | instid1(VALU_DEP_2)
	v_mul_f16_e32 v2, -0.5, v26
	v_fmamk_f16 v40, v0, 0x3aee, v12
	v_fmac_f16_e32 v12, 0xbaee, v0
	v_mul_lo_u16 v0, 0x67, v228
	s_delay_alu instid0(VALU_DEP_4) | instskip(NEXT) | instid1(VALU_DEP_2)
	v_fmac_f16_e32 v2, 0x3aee, v32
	v_lshrrev_b16 v0, 10, v0
	s_delay_alu instid0(VALU_DEP_2) | instskip(SKIP_1) | instid1(VALU_DEP_3)
	v_add_f16_e32 v45, v12, v2
	v_sub_f16_e32 v46, v12, v2
	v_mul_lo_u16 v1, v0, 10
	v_and_b32_e32 v0, 0xffff, v0
	s_delay_alu instid0(VALU_DEP_2) | instskip(NEXT) | instid1(VALU_DEP_2)
	v_sub_nc_u16 v1, v228, v1
	v_mul_u32_u24_e32 v0, 60, v0
	s_delay_alu instid0(VALU_DEP_2) | instskip(NEXT) | instid1(VALU_DEP_1)
	v_and_b32_e32 v1, 0xff, v1
	v_mad_co_u64_u32 v[5:6], null, v1, 20, s[6:7]
	s_clause 0x1
	global_load_b32 v117, v[5:6], off offset:16
	global_load_b128 v[5:8], v[5:6], off
	v_add_lshl_u32 v116, v0, v1, 2
	s_wait_loadcnt 0x0
	v_lshrrev_b32_e32 v10, 16, v5
	v_lshrrev_b32_e32 v12, 16, v7
	;; [unrolled: 1-line block ×3, first 2 shown]
	s_delay_alu instid0(VALU_DEP_3) | instskip(SKIP_1) | instid1(VALU_DEP_4)
	v_mul_f16_e32 v2, v13, v10
	v_mul_f16_e32 v4, v3, v10
	;; [unrolled: 1-line block ×3, first 2 shown]
	s_delay_alu instid0(VALU_DEP_3) | instskip(SKIP_1) | instid1(VALU_DEP_4)
	v_fmac_f16_e32 v2, v3, v5
	v_lshrrev_b32_e32 v3, 16, v9
	v_fma_f16 v4, v13, v5, -v4
	s_delay_alu instid0(VALU_DEP_2) | instskip(SKIP_4) | instid1(VALU_DEP_1)
	v_mul_f16_e32 v10, v3, v12
	ds_load_2addr_stride64_b32 v[12:13], v58 offset0:20 offset1:22
	v_fmac_f16_e32 v16, v3, v7
	v_fma_f16 v15, v9, v7, -v10
	v_lshrrev_b32_e32 v10, 16, v117
	v_mul_f16_e32 v9, v17, v10
	v_mul_f16_e32 v19, v11, v10
	s_delay_alu instid0(VALU_DEP_2) | instskip(SKIP_2) | instid1(VALU_DEP_4)
	v_fma_f16 v18, v11, v117, -v9
	v_mul_lo_u16 v9, 0xcd, v22
	v_lshrrev_b32_e32 v11, 16, v6
	v_fmac_f16_e32 v19, v17, v117
	s_wait_dscnt 0x0
	v_lshrrev_b32_e32 v10, 16, v12
	v_lshrrev_b16 v57, 11, v9
	v_mul_f16_e32 v20, v12, v11
	v_lshrrev_b32_e32 v47, 16, v13
	v_sub_f16_e32 v81, v15, v18
	v_sub_f16_e32 v83, v16, v19
	v_mul_lo_u16 v9, v57, 10
	v_fmac_f16_e32 v20, v10, v6
	v_mul_f16_e32 v10, v10, v11
	s_delay_alu instid0(VALU_DEP_3) | instskip(NEXT) | instid1(VALU_DEP_2)
	v_sub_nc_u16 v9, v22, v9
	v_fma_f16 v24, v12, v6, -v10
	s_delay_alu instid0(VALU_DEP_2) | instskip(NEXT) | instid1(VALU_DEP_1)
	v_and_b32_e32 v61, 0xff, v9
	v_mad_co_u64_u32 v[9:10], null, v61, 20, s[6:7]
	s_clause 0x1
	global_load_b32 v109, v[9:10], off offset:16
	global_load_b128 v[9:12], v[9:10], off
	s_wait_loadcnt 0x0
	v_lshrrev_b32_e32 v48, 16, v10
	v_lshrrev_b32_e32 v51, 16, v12
	;; [unrolled: 1-line block ×3, first 2 shown]
	s_delay_alu instid0(VALU_DEP_3) | instskip(SKIP_1) | instid1(VALU_DEP_2)
	v_mul_f16_e32 v14, v47, v48
	v_mul_f16_e32 v63, v13, v48
	v_fma_f16 v62, v13, v10, -v14
	ds_load_2addr_stride64_b32 v[13:14], v58 offset0:40 offset1:42
	v_fmac_f16_e32 v63, v47, v10
	s_wait_dscnt 0x0
	v_lshrrev_b32_e32 v48, 16, v13
	v_mul_f16_e32 v54, v13, v52
	v_mul_f16_e32 v65, v14, v51
	s_delay_alu instid0(VALU_DEP_3) | instskip(NEXT) | instid1(VALU_DEP_3)
	v_mul_f16_e32 v49, v48, v52
	v_fmac_f16_e32 v54, v48, v8
	ds_load_2addr_stride64_b32 v[47:48], v58 offset0:32 offset1:34
	v_lshrrev_b32_e32 v52, 16, v109
	v_fma_f16 v53, v13, v8, -v49
	v_lshrrev_b32_e32 v49, 16, v14
	v_sub_f16_e32 v79, v20, v54
	s_delay_alu instid0(VALU_DEP_3) | instskip(NEXT) | instid1(VALU_DEP_3)
	v_sub_f16_e32 v78, v24, v53
	v_mul_f16_e32 v50, v49, v51
	v_fmac_f16_e32 v65, v49, v12
	v_lshrrev_b32_e32 v49, 16, v11
	s_delay_alu instid0(VALU_DEP_3)
	v_fma_f16 v64, v14, v12, -v50
	ds_load_2addr_stride64_b32 v[13:14], v58 offset1:2
	v_add_f16_e32 v3, v62, v64
	s_wait_dscnt 0x1
	v_mul_f16_e32 v17, v47, v49
	s_wait_dscnt 0x0
	v_lshrrev_b32_e32 v66, 16, v14
	v_add_f16_e32 v67, v14, v62
	v_fmac_f16_e32 v14, -0.5, v3
	v_sub_f16_e32 v3, v63, v65
	v_lshrrev_b32_e32 v76, 16, v13
	s_delay_alu instid0(VALU_DEP_2) | instskip(SKIP_2) | instid1(VALU_DEP_1)
	v_fmamk_f16 v68, v3, 0x3aee, v14
	v_fmac_f16_e32 v14, 0xbaee, v3
	v_lshrrev_b32_e32 v3, 16, v47
	v_fmac_f16_e32 v17, v3, v11
	v_mul_f16_e32 v3, v3, v49
	ds_load_2addr_stride64_b32 v[49:50], v58 offset0:52 offset1:54
	v_fma_f16 v3, v47, v11, -v3
	s_wait_dscnt 0x0
	v_lshrrev_b32_e32 v51, 16, v49
	v_mul_f16_e32 v69, v49, v52
	s_delay_alu instid0(VALU_DEP_2) | instskip(NEXT) | instid1(VALU_DEP_2)
	v_mul_f16_e32 v55, v51, v52
	v_fmac_f16_e32 v69, v51, v109
	ds_load_2addr_stride64_b32 v[51:52], v58 offset0:12 offset1:14
	v_fma_f16 v47, v49, v109, -v55
	s_wait_dscnt 0x0
	v_lshrrev_b32_e32 v56, 16, v51
	v_mul_f16_e32 v70, v51, v59
	s_delay_alu instid0(VALU_DEP_1) | instskip(SKIP_1) | instid1(VALU_DEP_2)
	v_fmac_f16_e32 v70, v56, v9
	v_mul_f16_e32 v56, v56, v59
	v_add_f16_e32 v73, v70, v17
	s_delay_alu instid0(VALU_DEP_2) | instskip(SKIP_1) | instid1(VALU_DEP_2)
	v_fma_f16 v49, v51, v9, -v56
	v_add_f16_e32 v51, v3, v47
	v_add_f16_e32 v71, v49, v3
	s_delay_alu instid0(VALU_DEP_2) | instskip(SKIP_2) | instid1(VALU_DEP_2)
	v_fmac_f16_e32 v49, -0.5, v51
	v_sub_f16_e32 v51, v17, v69
	v_sub_f16_e32 v3, v3, v47
	v_fmamk_f16 v72, v51, 0x3aee, v49
	v_fmac_f16_e32 v49, 0xbaee, v51
	v_add_f16_e32 v51, v17, v69
	v_add_f16_e32 v17, v24, v53
	s_delay_alu instid0(VALU_DEP_2) | instskip(NEXT) | instid1(VALU_DEP_2)
	v_fmac_f16_e32 v70, -0.5, v51
	v_fma_f16 v74, -0.5, v17, v13
	v_add_f16_e32 v13, v13, v24
	v_add_f16_e32 v17, v76, v20
	v_or_b32_e32 v24, 0x180, v228
	v_fmamk_f16 v51, v3, 0xbaee, v70
	v_fmac_f16_e32 v70, 0x3aee, v3
	v_mul_f16_e32 v3, -0.5, v49
	v_add_f16_e32 v77, v13, v53
	v_add_f16_e32 v13, v15, v18
	;; [unrolled: 1-line block ×4, first 2 shown]
	v_fmac_f16_e32 v3, 0x3aee, v70
	s_delay_alu instid0(VALU_DEP_2) | instskip(NEXT) | instid1(VALU_DEP_2)
	v_add_f16_e32 v84, v17, v19
	v_add_f16_e32 v75, v14, v3
	v_sub_f16_e32 v3, v14, v3
	v_add_f16_e32 v14, v20, v54
	s_delay_alu instid0(VALU_DEP_4) | instskip(NEXT) | instid1(VALU_DEP_2)
	v_add_f16_e32 v1, v80, v84
	v_fmac_f16_e32 v76, -0.5, v14
	v_add_f16_e32 v14, v4, v15
	v_fmac_f16_e32 v4, -0.5, v13
	v_add_f16_e32 v13, v16, v19
	s_delay_alu instid0(VALU_DEP_4) | instskip(NEXT) | instid1(VALU_DEP_4)
	v_fmamk_f16 v87, v78, 0xbaee, v76
	v_add_f16_e32 v82, v14, v18
	s_delay_alu instid0(VALU_DEP_4) | instskip(NEXT) | instid1(VALU_DEP_4)
	v_fmamk_f16 v14, v83, 0x3aee, v4
	v_fmac_f16_e32 v2, -0.5, v13
	v_fmac_f16_e32 v4, 0xbaee, v83
	v_fmac_f16_e32 v76, 0x3aee, v78
	v_add_f16_e32 v0, v77, v82
	v_mul_f16_e32 v86, 0xbaee, v14
	v_fmamk_f16 v13, v81, 0xbaee, v2
	v_fmac_f16_e32 v2, 0x3aee, v81
	s_delay_alu instid0(VALU_DEP_4) | instskip(SKIP_1) | instid1(VALU_DEP_4)
	v_pack_b32_f16 v0, v0, v1
	v_fmamk_f16 v1, v79, 0x3aee, v74
	v_mul_f16_e32 v85, 0x3aee, v13
	v_fmac_f16_e32 v86, 0.5, v13
	v_fmac_f16_e32 v74, 0xbaee, v79
	s_delay_alu instid0(VALU_DEP_3) | instskip(NEXT) | instid1(VALU_DEP_3)
	v_fmac_f16_e32 v85, 0.5, v14
	v_add_f16_e32 v14, v87, v86
	s_delay_alu instid0(VALU_DEP_2) | instskip(SKIP_1) | instid1(VALU_DEP_2)
	v_add_f16_e32 v13, v1, v85
	v_sub_f16_e32 v1, v1, v85
	v_pack_b32_f16 v88, v13, v14
	v_mul_u32_u24_e32 v13, 0x199a, v24
	s_delay_alu instid0(VALU_DEP_1) | instskip(SKIP_1) | instid1(VALU_DEP_1)
	v_lshrrev_b32_e32 v89, 16, v13
	v_mul_u32_u24_e32 v13, 0x199a, v29
	v_lshrrev_b32_e32 v90, 16, v13
	s_delay_alu instid0(VALU_DEP_3) | instskip(NEXT) | instid1(VALU_DEP_1)
	v_mul_lo_u16 v13, v89, 10
	v_sub_nc_u16 v91, v24, v13
	s_delay_alu instid0(VALU_DEP_3) | instskip(NEXT) | instid1(VALU_DEP_1)
	v_mul_lo_u16 v13, v90, 10
	v_sub_nc_u16 v92, v29, v13
	s_delay_alu instid0(VALU_DEP_3) | instskip(NEXT) | instid1(VALU_DEP_2)
	v_mul_lo_u16 v13, v91, 20
	v_mul_lo_u16 v14, v92, 20
	s_delay_alu instid0(VALU_DEP_2) | instskip(NEXT) | instid1(VALU_DEP_2)
	v_and_b32_e32 v13, 0xffff, v13
	v_and_b32_e32 v15, 0xffff, v14
	s_delay_alu instid0(VALU_DEP_2) | instskip(SKIP_2) | instid1(VALU_DEP_3)
	v_add_co_u32 v13, s2, s6, v13
	s_wait_alu 0xf1ff
	v_add_co_ci_u32_e64 v14, null, s7, 0, s2
	v_add_co_u32 v15, s2, s6, v15
	s_wait_alu 0xf1ff
	v_add_co_ci_u32_e64 v16, null, s7, 0, s2
	s_clause 0x3
	global_load_b32 v112, v[13:14], off offset:16
	global_load_b32 v113, v[15:16], off offset:16
	global_load_b128 v[17:20], v[15:16], off
	global_load_b128 v[13:16], v[13:14], off
	ds_load_2addr_stride64_b32 v[53:54], v58 offset0:24 offset1:26
	ds_load_2addr_stride64_b32 v[55:56], v58 offset0:44 offset1:46
	;; [unrolled: 1-line block ×3, first 2 shown]
	global_wb scope:SCOPE_SE
	s_wait_loadcnt_dscnt 0x0
	s_barrier_signal -1
	s_barrier_wait -1
	global_inv scope:SCOPE_SE
	ds_store_2addr_b32 v116, v0, v88 offset1:10
	v_mul_f16_e32 v0, -0.5, v4
	s_delay_alu instid0(VALU_DEP_1) | instskip(SKIP_1) | instid1(VALU_DEP_2)
	v_fmac_f16_e32 v0, 0x3aee, v2
	v_mul_f16_e32 v2, -0.5, v2
	v_add_f16_e32 v78, v74, v0
	s_delay_alu instid0(VALU_DEP_2) | instskip(SKIP_3) | instid1(VALU_DEP_4)
	v_fmac_f16_e32 v2, 0xbaee, v4
	v_sub_f16_e32 v4, v77, v82
	v_sub_f16_e32 v77, v80, v84
	;; [unrolled: 1-line block ×3, first 2 shown]
	v_add_f16_e32 v79, v76, v2
	v_sub_f16_e32 v2, v76, v2
	s_delay_alu instid0(VALU_DEP_4) | instskip(NEXT) | instid1(VALU_DEP_3)
	v_pack_b32_f16 v4, v4, v77
	v_pack_b32_f16 v78, v78, v79
	s_delay_alu instid0(VALU_DEP_3) | instskip(SKIP_3) | instid1(VALU_DEP_1)
	v_pack_b32_f16 v0, v0, v2
	v_add_f16_e32 v2, v67, v64
	ds_store_2addr_b32 v116, v78, v4 offset0:20 offset1:30
	v_sub_f16_e32 v4, v87, v86
	v_pack_b32_f16 v1, v1, v4
	v_add_f16_e32 v4, v71, v47
	v_add_f16_e32 v47, v73, v69
	ds_store_2addr_b32 v116, v1, v0 offset0:40 offset1:50
	v_add_f16_e32 v0, v63, v65
	v_add_f16_e32 v1, v66, v63
	v_mul_f16_e32 v63, 0xbaee, v72
	s_delay_alu instid0(VALU_DEP_3) | instskip(SKIP_2) | instid1(VALU_DEP_4)
	v_fmac_f16_e32 v66, -0.5, v0
	v_sub_f16_e32 v0, v62, v64
	v_mul_f16_e32 v62, 0x3aee, v51
	v_fmac_f16_e32 v63, 0.5, v51
	v_and_b32_e32 v51, 0xffff, v57
	v_add_f16_e32 v1, v1, v65
	s_delay_alu instid0(VALU_DEP_4) | instskip(NEXT) | instid1(VALU_DEP_3)
	v_fmac_f16_e32 v62, 0.5, v72
	v_mul_u32_u24_e32 v51, 60, v51
	s_delay_alu instid0(VALU_DEP_3) | instskip(SKIP_1) | instid1(VALU_DEP_3)
	v_add_f16_e32 v57, v1, v47
	v_sub_f16_e32 v1, v1, v47
	v_add_lshl_u32 v118, v51, v61, 2
	v_add_f16_e32 v51, v2, v4
	v_sub_f16_e32 v2, v2, v4
	v_add_f16_e32 v61, v68, v62
	s_delay_alu instid0(VALU_DEP_3) | instskip(SKIP_4) | instid1(VALU_DEP_4)
	v_pack_b32_f16 v51, v51, v57
	v_fmamk_f16 v57, v0, 0xbaee, v66
	v_fmac_f16_e32 v66, 0x3aee, v0
	v_mul_f16_e32 v0, -0.5, v70
	v_pack_b32_f16 v1, v2, v1
	v_add_f16_e32 v64, v57, v63
	v_sub_f16_e32 v2, v57, v63
	s_delay_alu instid0(VALU_DEP_4) | instskip(NEXT) | instid1(VALU_DEP_3)
	v_fmac_f16_e32 v0, 0xbaee, v49
	v_pack_b32_f16 v61, v61, v64
	s_delay_alu instid0(VALU_DEP_2)
	v_add_f16_e32 v4, v66, v0
	v_sub_f16_e32 v0, v66, v0
	ds_store_2addr_b32 v118, v51, v61 offset1:10
	v_pack_b32_f16 v4, v75, v4
	v_pack_b32_f16 v0, v3, v0
	v_lshrrev_b32_e32 v3, 16, v48
	ds_store_2addr_b32 v118, v4, v1 offset0:20 offset1:30
	v_sub_f16_e32 v1, v68, v62
	s_delay_alu instid0(VALU_DEP_1)
	v_pack_b32_f16 v1, v1, v2
	ds_store_2addr_b32 v118, v1, v0 offset0:40 offset1:50
	v_lshrrev_b32_e32 v0, 16, v52
	v_lshrrev_b32_e32 v67, 16, v112
	;; [unrolled: 1-line block ×8, first 2 shown]
	v_mul_f16_e32 v4, v3, v47
	v_mul_f16_e32 v47, v48, v47
	v_mul_f16_e32 v1, v0, v2
	v_mul_f16_e32 v2, v52, v2
	v_mul_f16_e32 v63, v55, v64
	v_fma_f16 v4, v48, v19, -v4
	v_lshrrev_b32_e32 v48, 16, v50
	v_fma_f16 v1, v52, v17, -v1
	v_fmac_f16_e32 v2, v0, v17
	v_lshrrev_b32_e32 v0, 16, v27
	v_fmac_f16_e32 v47, v3, v19
	v_mul_f16_e32 v49, v48, v51
	v_lshrrev_b32_e32 v52, 16, v18
	v_lshrrev_b32_e32 v65, 16, v16
	s_delay_alu instid0(VALU_DEP_3) | instskip(SKIP_1) | instid1(VALU_DEP_4)
	v_fma_f16 v49, v50, v113, -v49
	v_mul_f16_e32 v50, v50, v51
	v_mul_f16_e32 v51, v53, v52
	s_delay_alu instid0(VALU_DEP_2) | instskip(SKIP_1) | instid1(VALU_DEP_1)
	v_fmac_f16_e32 v50, v48, v113
	v_lshrrev_b32_e32 v48, 16, v13
	v_mul_f16_e32 v3, v0, v48
	s_delay_alu instid0(VALU_DEP_1) | instskip(SKIP_2) | instid1(VALU_DEP_2)
	v_fma_f16 v3, v27, v13, -v3
	v_mul_f16_e32 v27, v27, v48
	v_lshrrev_b32_e32 v48, 16, v53
	v_fmac_f16_e32 v27, v0, v13
	s_delay_alu instid0(VALU_DEP_2) | instskip(SKIP_2) | instid1(VALU_DEP_2)
	v_fmac_f16_e32 v51, v48, v18
	v_mul_f16_e32 v48, v48, v52
	v_lshrrev_b32_e32 v52, 16, v54
	v_fma_f16 v48, v53, v18, -v48
	s_delay_alu instid0(VALU_DEP_2) | instskip(NEXT) | instid1(VALU_DEP_1)
	v_mul_f16_e32 v53, v52, v57
	v_fma_f16 v53, v54, v14, -v53
	v_mul_f16_e32 v54, v54, v57
	v_lshrrev_b32_e32 v57, 16, v23
	s_delay_alu instid0(VALU_DEP_2) | instskip(NEXT) | instid1(VALU_DEP_2)
	v_fmac_f16_e32 v54, v52, v14
	v_mul_f16_e32 v61, v57, v62
	v_lshrrev_b32_e32 v52, 16, v60
	s_delay_alu instid0(VALU_DEP_2) | instskip(SKIP_2) | instid1(VALU_DEP_2)
	v_fma_f16 v61, v23, v15, -v61
	v_mul_f16_e32 v23, v23, v62
	v_lshrrev_b32_e32 v62, 16, v55
	v_fmac_f16_e32 v23, v57, v15
	s_delay_alu instid0(VALU_DEP_2) | instskip(SKIP_2) | instid1(VALU_DEP_3)
	v_fmac_f16_e32 v63, v62, v20
	v_mul_f16_e32 v62, v62, v64
	v_add_f16_e32 v57, v60, v53
	v_add_f16_e32 v70, v51, v63
	s_delay_alu instid0(VALU_DEP_3) | instskip(SKIP_1) | instid1(VALU_DEP_2)
	v_fma_f16 v55, v55, v20, -v62
	v_lshrrev_b32_e32 v62, 16, v56
	v_add_f16_e32 v68, v48, v55
	s_delay_alu instid0(VALU_DEP_2) | instskip(NEXT) | instid1(VALU_DEP_2)
	v_mul_f16_e32 v64, v62, v65
	v_fma_f16 v68, -0.5, v68, v59
	s_delay_alu instid0(VALU_DEP_2) | instskip(SKIP_2) | instid1(VALU_DEP_3)
	v_fma_f16 v64, v56, v16, -v64
	v_mul_f16_e32 v56, v56, v65
	v_lshrrev_b32_e32 v65, 16, v25
	v_add_f16_e32 v0, v53, v64
	s_delay_alu instid0(VALU_DEP_3) | instskip(NEXT) | instid1(VALU_DEP_3)
	v_fmac_f16_e32 v56, v62, v16
	v_mul_f16_e32 v66, v65, v67
	s_delay_alu instid0(VALU_DEP_3) | instskip(NEXT) | instid1(VALU_DEP_3)
	v_fmac_f16_e32 v60, -0.5, v0
	v_sub_f16_e32 v0, v54, v56
	s_delay_alu instid0(VALU_DEP_3) | instskip(SKIP_1) | instid1(VALU_DEP_3)
	v_fma_f16 v66, v25, v112, -v66
	v_mul_f16_e32 v25, v25, v67
	v_fmamk_f16 v62, v0, 0x3aee, v60
	v_fmac_f16_e32 v60, 0xbaee, v0
	s_delay_alu instid0(VALU_DEP_3) | instskip(SKIP_2) | instid1(VALU_DEP_2)
	v_fmac_f16_e32 v25, v65, v112
	v_add_f16_e32 v0, v61, v66
	v_add_f16_e32 v65, v3, v61
	v_fmac_f16_e32 v3, -0.5, v0
	s_delay_alu instid0(VALU_DEP_4) | instskip(NEXT) | instid1(VALU_DEP_1)
	v_sub_f16_e32 v0, v23, v25
	v_fmamk_f16 v67, v0, 0x3aee, v3
	v_fmac_f16_e32 v3, 0xbaee, v0
	v_add_f16_e32 v0, v23, v25
	v_add_f16_e32 v23, v27, v23
	s_delay_alu instid0(VALU_DEP_2) | instskip(SKIP_1) | instid1(VALU_DEP_3)
	v_fmac_f16_e32 v27, -0.5, v0
	v_sub_f16_e32 v0, v61, v66
	v_add_f16_e32 v23, v23, v25
	s_delay_alu instid0(VALU_DEP_2) | instskip(SKIP_2) | instid1(VALU_DEP_3)
	v_fmamk_f16 v61, v0, 0xbaee, v27
	v_fmac_f16_e32 v27, 0x3aee, v0
	v_mul_f16_e32 v0, -0.5, v3
	v_mul_f16_e32 v25, 0x3aee, v61
	s_delay_alu instid0(VALU_DEP_2) | instskip(NEXT) | instid1(VALU_DEP_2)
	v_fmac_f16_e32 v0, 0x3aee, v27
	v_fmac_f16_e32 v25, 0.5, v67
	s_delay_alu instid0(VALU_DEP_2) | instskip(SKIP_4) | instid1(VALU_DEP_3)
	v_add_f16_e32 v69, v60, v0
	v_sub_f16_e32 v0, v60, v0
	v_lshrrev_b32_e32 v60, 16, v59
	v_add_f16_e32 v59, v59, v48
	v_sub_f16_e32 v48, v48, v55
	v_add_f16_e32 v71, v60, v51
	s_delay_alu instid0(VALU_DEP_3)
	v_add_f16_e32 v59, v59, v55
	v_sub_f16_e32 v51, v51, v63
	v_fmac_f16_e32 v60, -0.5, v70
	v_add_f16_e32 v70, v1, v4
	v_add_f16_e32 v55, v71, v63
	;; [unrolled: 1-line block ×4, first 2 shown]
	v_sub_f16_e32 v4, v4, v49
	v_add_f16_e32 v49, v70, v49
	v_fmamk_f16 v74, v48, 0xbaee, v60
	v_fmac_f16_e32 v1, -0.5, v63
	v_add_f16_e32 v63, v47, v50
	v_sub_f16_e32 v47, v47, v50
	v_add_f16_e32 v50, v71, v50
	v_add_f16_e32 v72, v59, v49
	v_fmac_f16_e32 v60, 0x3aee, v48
	v_fmac_f16_e32 v2, -0.5, v63
	v_fmamk_f16 v70, v47, 0x3aee, v1
	v_fmac_f16_e32 v1, 0xbaee, v47
	v_add_f16_e32 v73, v55, v50
	v_sub_f16_e32 v47, v55, v50
	v_fmamk_f16 v63, v4, 0xbaee, v2
	v_fmac_f16_e32 v2, 0x3aee, v4
	v_mul_f16_e32 v4, -0.5, v1
	v_pack_b32_f16 v72, v72, v73
	v_fmamk_f16 v73, v51, 0x3aee, v68
	v_mul_f16_e32 v71, 0x3aee, v63
	v_fmac_f16_e32 v68, 0xbaee, v51
	v_fmac_f16_e32 v4, 0x3aee, v2
	v_mul_f16_e32 v2, -0.5, v2
	s_delay_alu instid0(VALU_DEP_4) | instskip(SKIP_1) | instid1(VALU_DEP_4)
	v_fmac_f16_e32 v71, 0.5, v70
	v_mul_f16_e32 v70, 0xbaee, v70
	v_add_f16_e32 v48, v68, v4
	s_delay_alu instid0(VALU_DEP_4)
	v_fmac_f16_e32 v2, 0xbaee, v1
	v_sub_f16_e32 v1, v59, v49
	v_sub_f16_e32 v4, v68, v4
	v_fmac_f16_e32 v70, 0.5, v63
	v_mad_u16 v63, v90, 60, v92
	v_add_f16_e32 v49, v60, v2
	v_pack_b32_f16 v1, v1, v47
	v_sub_f16_e32 v2, v60, v2
	v_sub_f16_e32 v47, v74, v70
	v_and_b32_e32 v63, 0xffff, v63
	v_pack_b32_f16 v48, v48, v49
	v_mad_u16 v49, v89, 60, v91
	v_pack_b32_f16 v2, v4, v2
	v_add_f16_e32 v4, v57, v64
	v_lshlrev_b32_e32 v122, 2, v63
	v_add_f16_e32 v75, v73, v71
	v_add_f16_e32 v76, v74, v70
	v_and_b32_e32 v49, 0xffff, v49
	ds_store_2addr_b32 v122, v48, v1 offset0:20 offset1:30
	v_sub_f16_e32 v1, v73, v71
	v_mul_f16_e32 v48, 0xbaee, v67
	v_pack_b32_f16 v75, v75, v76
	v_lshlrev_b32_e32 v124, 2, v49
	s_delay_alu instid0(VALU_DEP_4)
	v_pack_b32_f16 v1, v1, v47
	v_add_f16_e32 v47, v65, v66
	v_fmac_f16_e32 v48, 0.5, v61
	ds_store_2addr_b32 v122, v72, v75 offset1:10
	ds_store_2addr_b32 v122, v1, v2 offset0:40 offset1:50
	v_add_f16_e32 v2, v52, v54
	v_add_f16_e32 v1, v54, v56
	;; [unrolled: 1-line block ×3, first 2 shown]
	s_delay_alu instid0(VALU_DEP_3) | instskip(NEXT) | instid1(VALU_DEP_3)
	v_add_f16_e32 v2, v2, v56
	v_fmac_f16_e32 v52, -0.5, v1
	v_sub_f16_e32 v1, v53, v64
	v_add_f16_e32 v53, v62, v25
	s_delay_alu instid0(VALU_DEP_4) | instskip(SKIP_2) | instid1(VALU_DEP_3)
	v_add_f16_e32 v51, v2, v23
	v_sub_f16_e32 v2, v2, v23
	v_mul_f16_e32 v23, 0x3aee, v44
	v_pack_b32_f16 v50, v50, v51
	v_fmamk_f16 v51, v1, 0xbaee, v52
	v_fmac_f16_e32 v52, 0x3aee, v1
	v_mul_f16_e32 v1, -0.5, v27
	v_mad_u16 v27, v30, 60, v31
	v_fmac_f16_e32 v23, 0.5, v43
	v_add_f16_e32 v54, v51, v48
	s_delay_alu instid0(VALU_DEP_4) | instskip(SKIP_2) | instid1(VALU_DEP_4)
	v_fmac_f16_e32 v1, 0xbaee, v3
	v_sub_f16_e32 v3, v4, v47
	v_and_b32_e32 v27, 0xffff, v27
	v_pack_b32_f16 v53, v53, v54
	v_or_b32_e32 v47, 0x300, v228
	v_add_f16_e32 v4, v52, v1
	v_pack_b32_f16 v2, v3, v2
	v_sub_f16_e32 v3, v51, v48
	v_sub_f16_e32 v1, v52, v1
	v_lshlrev_b32_e32 v123, 2, v27
	v_pack_b32_f16 v4, v69, v4
	ds_store_2addr_b32 v124, v50, v53 offset1:10
	v_mul_u32_u24_e32 v49, 0x445, v47
	v_pack_b32_f16 v0, v0, v1
	v_add_f16_e32 v1, v28, v36
	ds_store_2addr_b32 v124, v4, v2 offset0:20 offset1:30
	v_sub_f16_e32 v2, v62, v25
	v_add_f16_e32 v4, v42, v33
	v_mul_f16_e32 v25, 0xbaee, v43
	v_add_f16_e32 v1, v1, v37
	v_add_f16_e32 v33, v40, v23
	v_pack_b32_f16 v2, v2, v3
	v_add_f16_e32 v3, v35, v34
	v_fmac_f16_e32 v25, 0.5, v44
	v_add_f16_e32 v31, v1, v4
	v_sub_f16_e32 v1, v1, v4
	ds_store_2addr_b32 v124, v2, v0 offset0:40 offset1:50
	v_add_f16_e32 v0, v36, v37
	v_add_f16_e32 v2, v41, v39
	v_mul_u32_u24_e32 v4, 0x445, v24
	v_lshrrev_b32_e32 v84, 16, v49
	v_or_b32_e32 v43, 0x400, v228
	v_fmac_f16_e32 v28, -0.5, v0
	v_sub_f16_e32 v0, v38, v39
	v_add_f16_e32 v30, v2, v3
	v_sub_f16_e32 v2, v2, v3
	v_lshrrev_b32_e32 v4, 16, v4
	v_mul_u32_u24_e32 v44, 0x889, v43
	v_or_b32_e32 v41, 0x480, v228
	v_pack_b32_f16 v30, v30, v31
	v_fmamk_f16 v31, v0, 0xbaee, v28
	v_fmac_f16_e32 v28, 0x3aee, v0
	v_mul_f16_e32 v0, -0.5, v32
	v_pack_b32_f16 v1, v2, v1
	v_mul_u32_u24_e32 v42, 0x889, v41
	v_sub_f16_e32 v2, v31, v25
	v_add_f16_e32 v34, v31, v25
	v_fmac_f16_e32 v0, 0xbaee, v26
	v_mul_lo_u16 v26, v4, 60
	v_or_b32_e32 v37, 0x500, v228
	v_lshrrev_b32_e32 v89, 17, v42
	v_pack_b32_f16 v33, v33, v34
	v_add_f16_e32 v3, v28, v0
	v_sub_f16_e32 v0, v28, v0
	v_sub_nc_u16 v79, v24, v26
	v_mul_u32_u24_e32 v39, 0x889, v37
	ds_store_2addr_b32 v123, v30, v33 offset1:10
	v_pack_b32_f16 v3, v45, v3
	v_pack_b32_f16 v0, v46, v0
	v_mul_u32_u24_e32 v45, 0x445, v21
	v_or_b32_e32 v46, 0x280, v228
	v_lshrrev_b32_e32 v91, 17, v39
	ds_store_2addr_b32 v123, v3, v1 offset0:20 offset1:30
	v_sub_f16_e32 v1, v40, v23
	v_lshrrev_b32_e32 v80, 16, v45
	v_mul_lo_u16 v23, 0x89, v22
	v_mul_u32_u24_e32 v48, 0x445, v46
	v_or_b32_e32 v38, 0x580, v228
	v_pack_b32_f16 v1, v1, v2
	v_mul_lo_u16 v26, v80, 60
	v_or_b32_e32 v34, 0x600, v228
	v_lshrrev_b32_e32 v82, 16, v48
	v_mul_u32_u24_e32 v40, 0x889, v38
	ds_store_2addr_b32 v123, v1, v0 offset0:40 offset1:50
	v_mul_lo_u16 v0, 0x89, v228
	v_sub_nc_u16 v81, v21, v26
	v_and_b32_e32 v26, 0xffff, v79
	v_lshrrev_b32_e32 v93, 17, v40
	v_mul_u32_u24_e32 v36, 0x889, v34
	v_lshrrev_b16 v0, 13, v0
	v_mad_u16 v4, 0x78, v4, v79
	v_lshlrev_b32_e32 v27, 2, v26
	v_and_b32_e32 v26, 0xffff, v81
	v_lshrrev_b32_e32 v95, 17, v36
	v_mul_lo_u16 v1, v0, 60
	v_and_b32_e32 v0, 0xffff, v0
	v_lshrrev_b32_e32 v79, 17, v45
	v_lshlrev_b32_e32 v28, 2, v26
	v_mul_lo_u16 v26, v82, 60
	v_sub_nc_u16 v1, v228, v1
	v_mul_u32_u24_e32 v0, 0x78, v0
	s_delay_alu instid0(VALU_DEP_3) | instskip(NEXT) | instid1(VALU_DEP_3)
	v_sub_nc_u16 v83, v46, v26
	v_and_b32_e32 v1, 0xff, v1
	v_mul_lo_u16 v26, v84, 60
	s_delay_alu instid0(VALU_DEP_2) | instskip(SKIP_2) | instid1(VALU_DEP_4)
	v_add_lshl_u32 v101, v0, v1, 2
	v_lshlrev_b32_e32 v0, 2, v1
	v_lshrrev_b16 v1, 13, v23
	v_sub_nc_u16 v85, v47, v26
	scratch_store_b32 off, v101, off offset:200 ; 4-byte Folded Spill
	global_wb scope:SCOPE_SE
	s_wait_storecnt_dscnt 0x0
	s_barrier_signal -1
	s_barrier_wait -1
	global_inv scope:SCOPE_SE
	global_load_b32 v156, v0, s[6:7] offset:200
	v_mul_lo_u16 v2, v1, 60
	v_and_b32_e32 v32, 0xffff, v85
	v_and_b32_e32 v1, 0xffff, v1
	s_delay_alu instid0(VALU_DEP_3) | instskip(NEXT) | instid1(VALU_DEP_3)
	v_sub_nc_u16 v2, v22, v2
	v_lshlrev_b32_e32 v32, 2, v32
	s_delay_alu instid0(VALU_DEP_3) | instskip(NEXT) | instid1(VALU_DEP_3)
	v_mul_u32_u24_e32 v1, 0x78, v1
	v_and_b32_e32 v2, 0xff, v2
	s_delay_alu instid0(VALU_DEP_1) | instskip(SKIP_3) | instid1(VALU_DEP_2)
	v_lshlrev_b32_e32 v26, 2, v2
	global_load_b32 v154, v26, s[6:7] offset:200
	v_mul_u32_u24_e32 v0, 0x445, v29
	v_or_b32_e32 v26, 0x380, v228
	v_lshrrev_b32_e32 v0, 16, v0
	s_delay_alu instid0(VALU_DEP_2) | instskip(NEXT) | instid1(VALU_DEP_2)
	v_mul_u32_u24_e32 v30, 0x445, v26
	v_mul_lo_u16 v3, v0, 60
	s_delay_alu instid0(VALU_DEP_2) | instskip(NEXT) | instid1(VALU_DEP_2)
	v_lshrrev_b32_e32 v86, 16, v30
	v_sub_nc_u16 v3, v29, v3
	s_delay_alu instid0(VALU_DEP_2) | instskip(NEXT) | instid1(VALU_DEP_2)
	v_mul_lo_u16 v31, v86, 60
	v_and_b32_e32 v25, 0xffff, v3
	s_delay_alu instid0(VALU_DEP_2) | instskip(SKIP_2) | instid1(VALU_DEP_4)
	v_sub_nc_u16 v87, v26, v31
	v_and_b32_e32 v31, 0xffff, v83
	v_mad_u16 v0, 0x78, v0, v3
	v_lshlrev_b32_e32 v25, 2, v25
	s_delay_alu instid0(VALU_DEP_4) | instskip(NEXT) | instid1(VALU_DEP_4)
	v_and_b32_e32 v33, 0xffff, v87
	v_lshlrev_b32_e32 v31, 2, v31
	s_delay_alu instid0(VALU_DEP_4) | instskip(NEXT) | instid1(VALU_DEP_3)
	v_and_b32_e32 v0, 0xffff, v0
	v_lshlrev_b32_e32 v33, 2, v33
	s_clause 0x5
	global_load_b32 v153, v25, s[6:7] offset:200
	global_load_b32 v151, v27, s[6:7] offset:200
	;; [unrolled: 1-line block ×6, first 2 shown]
	ds_load_2addr_stride64_b32 v[27:28], v58 offset0:28 offset1:30
	ds_load_2addr_stride64_b32 v[50:51], v58 offset1:2
	v_or_b32_e32 v33, 0x680, v228
	v_lshlrev_b32_e32 v0, 2, v0
	s_delay_alu instid0(VALU_DEP_2) | instskip(NEXT) | instid1(VALU_DEP_1)
	v_mul_u32_u24_e32 v35, 0x889, v33
	v_lshrrev_b32_e32 v97, 17, v35
	s_wait_dscnt 0x1
	v_lshrrev_b32_e32 v25, 16, v28
	s_wait_loadcnt 0x7
	v_lshrrev_b32_e32 v32, 16, v156
	s_delay_alu instid0(VALU_DEP_1) | instskip(NEXT) | instid1(VALU_DEP_1)
	v_mul_f16_e32 v31, v28, v32
	v_fmac_f16_e64 v31, v25, v156
	v_mul_f16_e32 v25, v25, v32
	s_delay_alu instid0(VALU_DEP_1) | instskip(SKIP_2) | instid1(VALU_DEP_2)
	v_fma_f16 v25, v28, v156, -v25
	s_wait_dscnt 0x0
	v_lshrrev_b32_e32 v28, 16, v50
	v_sub_f16_e32 v25, v50, v25
	s_delay_alu instid0(VALU_DEP_2) | instskip(NEXT) | instid1(VALU_DEP_2)
	v_sub_f16_e32 v31, v28, v31
	v_fma_f16 v32, v50, 2.0, -v25
	v_lshrrev_b32_e32 v50, 17, v44
	s_delay_alu instid0(VALU_DEP_3) | instskip(SKIP_1) | instid1(VALU_DEP_3)
	v_fma_f16 v28, v28, 2.0, -v31
	v_pack_b32_f16 v25, v25, v31
	v_mul_lo_u16 v31, v50, 60
	s_delay_alu instid0(VALU_DEP_3) | instskip(NEXT) | instid1(VALU_DEP_2)
	v_pack_b32_f16 v28, v32, v28
	v_sub_nc_u16 v88, v43, v31
	v_mul_lo_u16 v31, v89, 60
	s_delay_alu instid0(VALU_DEP_1) | instskip(SKIP_1) | instid1(VALU_DEP_1)
	v_sub_nc_u16 v90, v41, v31
	v_mul_lo_u16 v31, v91, 60
	v_sub_nc_u16 v92, v37, v31
	v_and_b32_e32 v31, 0xffff, v88
	s_delay_alu instid0(VALU_DEP_1) | instskip(SKIP_1) | instid1(VALU_DEP_1)
	v_lshlrev_b32_e32 v52, 2, v31
	v_and_b32_e32 v31, 0xffff, v90
	v_lshlrev_b32_e32 v53, 2, v31
	v_and_b32_e32 v31, 0xffff, v92
	s_delay_alu instid0(VALU_DEP_1) | instskip(SKIP_1) | instid1(VALU_DEP_1)
	v_lshlrev_b32_e32 v54, 2, v31
	v_mul_lo_u16 v31, v93, 60
	v_sub_nc_u16 v94, v38, v31
	v_mul_lo_u16 v31, v95, 60
	s_delay_alu instid0(VALU_DEP_1) | instskip(NEXT) | instid1(VALU_DEP_3)
	v_sub_nc_u16 v96, v34, v31
	v_and_b32_e32 v31, 0xffff, v94
	s_delay_alu instid0(VALU_DEP_1) | instskip(NEXT) | instid1(VALU_DEP_3)
	v_lshlrev_b32_e32 v55, 2, v31
	v_and_b32_e32 v31, 0xffff, v96
	s_delay_alu instid0(VALU_DEP_1) | instskip(SKIP_1) | instid1(VALU_DEP_1)
	v_lshlrev_b32_e32 v56, 2, v31
	v_mul_lo_u16 v31, v97, 60
	v_sub_nc_u16 v98, v33, v31
	v_or_b32_e32 v31, 0x700, v228
	s_delay_alu instid0(VALU_DEP_1) | instskip(NEXT) | instid1(VALU_DEP_1)
	v_mul_u32_u24_e32 v32, 0x889, v31
	v_lshrrev_b32_e32 v99, 17, v32
	s_delay_alu instid0(VALU_DEP_1) | instskip(NEXT) | instid1(VALU_DEP_1)
	v_mul_lo_u16 v57, v99, 60
	v_sub_nc_u16 v100, v31, v57
	v_and_b32_e32 v57, 0xffff, v98
	s_delay_alu instid0(VALU_DEP_2) | instskip(NEXT) | instid1(VALU_DEP_2)
	v_and_b32_e32 v59, 0xffff, v100
	v_lshlrev_b32_e32 v57, 2, v57
	s_delay_alu instid0(VALU_DEP_2)
	v_lshlrev_b32_e32 v59, 2, v59
	s_clause 0x6
	global_load_b32 v152, v52, s[6:7] offset:200
	global_load_b32 v149, v53, s[6:7] offset:200
	global_load_b32 v145, v54, s[6:7] offset:200
	global_load_b32 v141, v55, s[6:7] offset:200
	global_load_b32 v137, v56, s[6:7] offset:200
	global_load_b32 v134, v57, s[6:7] offset:200
	global_load_b32 v133, v59, s[6:7] offset:200
	ds_load_2addr_stride64_b32 v[52:53], v58 offset0:32 offset1:34
	ds_load_2addr_stride64_b32 v[54:55], v58 offset0:4 offset1:6
	;; [unrolled: 1-line block ×13, first 2 shown]
	global_wb scope:SCOPE_SE
	s_wait_loadcnt_dscnt 0x0
	s_barrier_signal -1
	s_barrier_wait -1
	global_inv scope:SCOPE_SE
	ds_store_2addr_b32 v101, v28, v25 offset1:60
	v_lshrrev_b32_e32 v101, 16, v154
	scratch_store_b32 off, v0, off offset:208 ; 4-byte Folded Spill
	v_lshrrev_b32_e32 v25, 16, v52
	v_mul_f16_e32 v28, v52, v101
	s_delay_alu instid0(VALU_DEP_1) | instskip(SKIP_2) | instid1(VALU_DEP_2)
	v_fmac_f16_e64 v28, v25, v154
	v_mul_f16_e32 v25, v25, v101
	v_add_lshl_u32 v101, v1, v2, 2
	v_fma_f16 v25, v52, v154, -v25
	v_lshrrev_b32_e32 v52, 16, v51
	scratch_store_b32 off, v101, off offset:204 ; 4-byte Folded Spill
	v_sub_f16_e32 v25, v51, v25
	v_sub_f16_e32 v1, v52, v28
	s_delay_alu instid0(VALU_DEP_2) | instskip(NEXT) | instid1(VALU_DEP_2)
	v_fma_f16 v51, v51, 2.0, -v25
	v_fma_f16 v2, v52, 2.0, -v1
	v_pack_b32_f16 v1, v25, v1
	v_lshrrev_b32_e32 v25, 16, v153
	s_delay_alu instid0(VALU_DEP_3) | instskip(SKIP_2) | instid1(VALU_DEP_1)
	v_pack_b32_f16 v2, v51, v2
	ds_store_2addr_b32 v101, v2, v1 offset1:60
	v_lshrrev_b32_e32 v1, 16, v53
	v_mul_f16_e32 v2, v1, v25
	v_mul_f16_e32 v25, v53, v25
	s_delay_alu instid0(VALU_DEP_2) | instskip(NEXT) | instid1(VALU_DEP_2)
	v_fma_f16 v2, v53, v153, -v2
	v_fmac_f16_e64 v25, v1, v153
	v_lshrrev_b32_e32 v1, 16, v54
	s_delay_alu instid0(VALU_DEP_3) | instskip(NEXT) | instid1(VALU_DEP_2)
	v_sub_f16_e32 v2, v54, v2
	v_sub_f16_e32 v3, v1, v25
	s_delay_alu instid0(VALU_DEP_2) | instskip(NEXT) | instid1(VALU_DEP_2)
	v_fma_f16 v25, v54, 2.0, -v2
	v_fma_f16 v1, v1, 2.0, -v3
	v_pack_b32_f16 v2, v2, v3
	s_delay_alu instid0(VALU_DEP_2) | instskip(SKIP_3) | instid1(VALU_DEP_2)
	v_pack_b32_f16 v1, v25, v1
	ds_store_2addr_b32 v0, v1, v2 offset1:60
	v_lshrrev_b32_e32 v2, 16, v151
	v_lshrrev_b32_e32 v0, 16, v56
	v_mul_f16_e32 v1, v56, v2
	s_delay_alu instid0(VALU_DEP_1) | instskip(SKIP_2) | instid1(VALU_DEP_2)
	v_fmac_f16_e64 v1, v0, v151
	v_mul_f16_e32 v0, v0, v2
	v_lshrrev_b32_e32 v2, 16, v55
	v_fma_f16 v0, v56, v151, -v0
	s_delay_alu instid0(VALU_DEP_2) | instskip(NEXT) | instid1(VALU_DEP_2)
	v_sub_f16_e32 v1, v2, v1
	v_sub_f16_e32 v0, v55, v0
	s_delay_alu instid0(VALU_DEP_2) | instskip(NEXT) | instid1(VALU_DEP_2)
	v_fma_f16 v2, v2, 2.0, -v1
	v_fma_f16 v3, v55, 2.0, -v0
	v_pack_b32_f16 v0, v0, v1
	v_and_b32_e32 v1, 0xffff, v4
	s_delay_alu instid0(VALU_DEP_3) | instskip(SKIP_1) | instid1(VALU_DEP_3)
	v_pack_b32_f16 v2, v3, v2
	v_lshrrev_b32_e32 v3, 16, v59
	v_lshlrev_b32_e32 v1, 2, v1
	ds_store_2addr_b32 v1, v2, v0 offset1:60
	v_lshrrev_b32_e32 v0, 16, v57
	v_lshrrev_b32_e32 v2, 16, v147
	scratch_store_b32 off, v1, off offset:212 ; 4-byte Folded Spill
	v_mul_f16_e32 v1, v0, v2
	v_mul_f16_e32 v2, v57, v2
	s_delay_alu instid0(VALU_DEP_2) | instskip(NEXT) | instid1(VALU_DEP_2)
	v_fma_f16 v1, v57, v147, -v1
	v_fmac_f16_e64 v2, v0, v147
	v_mad_u16 v0, 0x78, v80, v81
	v_lshrrev_b32_e32 v81, 17, v48
	s_delay_alu instid0(VALU_DEP_4) | instskip(NEXT) | instid1(VALU_DEP_4)
	v_sub_f16_e32 v1, v59, v1
	v_sub_f16_e32 v2, v3, v2
	s_delay_alu instid0(VALU_DEP_4) | instskip(NEXT) | instid1(VALU_DEP_3)
	v_and_b32_e32 v0, 0xffff, v0
	v_fma_f16 v4, v59, 2.0, -v1
	s_delay_alu instid0(VALU_DEP_3) | instskip(SKIP_1) | instid1(VALU_DEP_4)
	v_fma_f16 v3, v3, 2.0, -v2
	v_pack_b32_f16 v1, v1, v2
	v_lshlrev_b32_e32 v0, 2, v0
	v_lshrrev_b32_e32 v2, 16, v143
	s_delay_alu instid0(VALU_DEP_4)
	v_pack_b32_f16 v3, v4, v3
	v_mad_u16 v4, 0x78, v82, v83
	scratch_store_b32 off, v0, off offset:216 ; 4-byte Folded Spill
	v_lshrrev_b32_e32 v83, 17, v49
	ds_store_2addr_b32 v0, v3, v1 offset1:60
	v_lshrrev_b32_e32 v0, 16, v61
	v_mul_f16_e32 v1, v61, v2
	s_delay_alu instid0(VALU_DEP_1) | instskip(SKIP_2) | instid1(VALU_DEP_2)
	v_fmac_f16_e64 v1, v0, v143
	v_mul_f16_e32 v0, v0, v2
	v_lshrrev_b32_e32 v2, 16, v60
	v_fma_f16 v0, v61, v143, -v0
	s_delay_alu instid0(VALU_DEP_2) | instskip(NEXT) | instid1(VALU_DEP_2)
	v_sub_f16_e32 v1, v2, v1
	v_sub_f16_e32 v0, v60, v0
	s_delay_alu instid0(VALU_DEP_2) | instskip(NEXT) | instid1(VALU_DEP_2)
	v_fma_f16 v2, v2, 2.0, -v1
	v_fma_f16 v3, v60, 2.0, -v0
	v_pack_b32_f16 v0, v0, v1
	v_and_b32_e32 v1, 0xffff, v4
	s_delay_alu instid0(VALU_DEP_3) | instskip(SKIP_1) | instid1(VALU_DEP_3)
	v_pack_b32_f16 v2, v3, v2
	v_lshrrev_b32_e32 v3, 16, v63
	v_lshlrev_b32_e32 v1, 2, v1
	ds_store_2addr_b32 v1, v2, v0 offset1:60
	v_lshrrev_b32_e32 v0, 16, v62
	v_lshrrev_b32_e32 v2, 16, v139
	scratch_store_b32 off, v1, off offset:220 ; 4-byte Folded Spill
	v_mul_f16_e32 v1, v0, v2
	v_mul_f16_e32 v2, v62, v2
	s_delay_alu instid0(VALU_DEP_2) | instskip(NEXT) | instid1(VALU_DEP_2)
	v_fma_f16 v1, v62, v139, -v1
	v_fmac_f16_e64 v2, v0, v139
	v_mad_u16 v0, 0x78, v84, v85
	v_lshrrev_b32_e32 v85, 17, v30
	s_delay_alu instid0(VALU_DEP_4) | instskip(NEXT) | instid1(VALU_DEP_4)
	v_sub_f16_e32 v1, v63, v1
	v_sub_f16_e32 v2, v3, v2
	s_delay_alu instid0(VALU_DEP_4) | instskip(NEXT) | instid1(VALU_DEP_3)
	v_and_b32_e32 v0, 0xffff, v0
	v_fma_f16 v4, v63, 2.0, -v1
	s_delay_alu instid0(VALU_DEP_3) | instskip(SKIP_1) | instid1(VALU_DEP_4)
	v_fma_f16 v3, v3, 2.0, -v2
	v_pack_b32_f16 v1, v1, v2
	v_lshlrev_b32_e32 v0, 2, v0
	v_lshrrev_b32_e32 v2, 16, v135
	s_delay_alu instid0(VALU_DEP_4)
	v_pack_b32_f16 v3, v4, v3
	v_mad_u16 v4, 0x78, v86, v87
	scratch_store_b32 off, v0, off offset:224 ; 4-byte Folded Spill
	ds_store_2addr_b32 v0, v3, v1 offset1:60
	v_lshrrev_b32_e32 v0, 16, v65
	v_mul_f16_e32 v1, v65, v2
	s_delay_alu instid0(VALU_DEP_1) | instskip(SKIP_2) | instid1(VALU_DEP_2)
	v_fmac_f16_e64 v1, v0, v135
	v_mul_f16_e32 v0, v0, v2
	v_lshrrev_b32_e32 v2, 16, v64
	v_fma_f16 v0, v65, v135, -v0
	s_delay_alu instid0(VALU_DEP_2) | instskip(NEXT) | instid1(VALU_DEP_2)
	v_sub_f16_e32 v1, v2, v1
	v_sub_f16_e32 v0, v64, v0
	s_delay_alu instid0(VALU_DEP_2) | instskip(NEXT) | instid1(VALU_DEP_2)
	v_fma_f16 v2, v2, 2.0, -v1
	v_fma_f16 v3, v64, 2.0, -v0
	v_pack_b32_f16 v0, v0, v1
	v_and_b32_e32 v1, 0xffff, v4
	s_delay_alu instid0(VALU_DEP_3) | instskip(SKIP_1) | instid1(VALU_DEP_3)
	v_pack_b32_f16 v2, v3, v2
	v_lshrrev_b32_e32 v3, 16, v67
	v_lshlrev_b32_e32 v1, 2, v1
	ds_store_2addr_b32 v1, v2, v0 offset1:60
	v_lshrrev_b32_e32 v0, 16, v66
	scratch_store_b32 off, v1, off offset:228 ; 4-byte Folded Spill
	v_lshrrev_b32_e32 v2, 16, v152
	s_delay_alu instid0(VALU_DEP_1) | instskip(SKIP_1) | instid1(VALU_DEP_2)
	v_mul_f16_e32 v1, v0, v2
	v_mul_f16_e32 v2, v66, v2
	v_fma_f16 v1, v66, v152, -v1
	s_delay_alu instid0(VALU_DEP_2) | instskip(SKIP_2) | instid1(VALU_DEP_4)
	v_fmac_f16_e64 v2, v0, v152
	v_mad_u16 v0, 0x78, v50, v88
	v_lshrrev_b32_e32 v88, 18, v42
	v_sub_f16_e32 v1, v67, v1
	s_delay_alu instid0(VALU_DEP_4) | instskip(NEXT) | instid1(VALU_DEP_4)
	v_sub_f16_e32 v2, v3, v2
	v_and_b32_e32 v0, 0xffff, v0
	s_delay_alu instid0(VALU_DEP_4) | instskip(NEXT) | instid1(VALU_DEP_4)
	v_mul_lo_u16 v53, 0x78, v88
	v_fma_f16 v4, v67, 2.0, -v1
	s_delay_alu instid0(VALU_DEP_4) | instskip(SKIP_3) | instid1(VALU_DEP_4)
	v_fma_f16 v3, v3, 2.0, -v2
	v_pack_b32_f16 v1, v1, v2
	v_lshlrev_b32_e32 v0, 2, v0
	v_lshrrev_b32_e32 v2, 16, v149
	v_pack_b32_f16 v3, v4, v3
	v_mad_u16 v4, 0x78, v89, v90
	scratch_store_b32 off, v0, off offset:232 ; 4-byte Folded Spill
	v_lshrrev_b32_e32 v90, 18, v39
	v_sub_nc_u16 v89, v41, v53
	ds_store_2addr_b32 v0, v3, v1 offset1:60
	v_lshrrev_b32_e32 v0, 16, v69
	v_mul_f16_e32 v1, v69, v2
	v_mul_lo_u16 v53, 0x78, v90
	s_delay_alu instid0(VALU_DEP_2) | instskip(SKIP_2) | instid1(VALU_DEP_2)
	v_fmac_f16_e64 v1, v0, v149
	v_mul_f16_e32 v0, v0, v2
	v_lshrrev_b32_e32 v2, 16, v68
	v_fma_f16 v0, v69, v149, -v0
	s_delay_alu instid0(VALU_DEP_2) | instskip(NEXT) | instid1(VALU_DEP_2)
	v_sub_f16_e32 v1, v2, v1
	v_sub_f16_e32 v0, v68, v0
	s_delay_alu instid0(VALU_DEP_2) | instskip(NEXT) | instid1(VALU_DEP_2)
	v_fma_f16 v2, v2, 2.0, -v1
	v_fma_f16 v3, v68, 2.0, -v0
	v_pack_b32_f16 v0, v0, v1
	v_and_b32_e32 v1, 0xffff, v4
	s_delay_alu instid0(VALU_DEP_3) | instskip(SKIP_1) | instid1(VALU_DEP_3)
	v_pack_b32_f16 v2, v3, v2
	v_lshrrev_b32_e32 v3, 16, v71
	v_lshlrev_b32_e32 v1, 2, v1
	ds_store_2addr_b32 v1, v2, v0 offset1:60
	v_lshrrev_b32_e32 v0, 16, v70
	v_lshrrev_b32_e32 v2, 16, v145
	scratch_store_b32 off, v1, off offset:236 ; 4-byte Folded Spill
	v_mul_f16_e32 v1, v0, v2
	v_mul_f16_e32 v2, v70, v2
	s_delay_alu instid0(VALU_DEP_2) | instskip(NEXT) | instid1(VALU_DEP_2)
	v_fma_f16 v1, v70, v145, -v1
	v_fmac_f16_e64 v2, v0, v145
	v_mad_u16 v0, 0x78, v91, v92
	v_lshrrev_b32_e32 v92, 18, v40
	v_sub_nc_u16 v91, v37, v53
	v_sub_f16_e32 v1, v71, v1
	v_sub_f16_e32 v2, v3, v2
	v_and_b32_e32 v0, 0xffff, v0
	v_mul_lo_u16 v55, 0x78, v92
	v_and_b32_e32 v53, 0xffff, v89
	v_fma_f16 v4, v71, 2.0, -v1
	v_fma_f16 v3, v3, 2.0, -v2
	v_pack_b32_f16 v1, v1, v2
	v_lshlrev_b32_e32 v0, 2, v0
	v_lshrrev_b32_e32 v2, 16, v141
	v_and_b32_e32 v54, 0xffff, v91
	v_pack_b32_f16 v3, v4, v3
	v_mad_u16 v4, 0x78, v93, v94
	scratch_store_b32 off, v0, off offset:240 ; 4-byte Folded Spill
	v_lshrrev_b32_e32 v94, 18, v36
	v_sub_nc_u16 v93, v38, v55
	ds_store_2addr_b32 v0, v3, v1 offset1:60
	v_lshrrev_b32_e32 v0, 16, v73
	v_mul_f16_e32 v1, v73, v2
	v_mul_lo_u16 v55, 0x78, v94
	v_lshlrev_b32_e32 v53, 2, v53
	v_lshlrev_b32_e32 v54, 2, v54
	s_delay_alu instid0(VALU_DEP_4) | instskip(SKIP_2) | instid1(VALU_DEP_2)
	v_fmac_f16_e64 v1, v0, v141
	v_mul_f16_e32 v0, v0, v2
	v_lshrrev_b32_e32 v2, 16, v72
	v_fma_f16 v0, v73, v141, -v0
	s_delay_alu instid0(VALU_DEP_2) | instskip(NEXT) | instid1(VALU_DEP_2)
	v_sub_f16_e32 v1, v2, v1
	v_sub_f16_e32 v0, v72, v0
	s_delay_alu instid0(VALU_DEP_2) | instskip(NEXT) | instid1(VALU_DEP_2)
	v_fma_f16 v2, v2, 2.0, -v1
	v_fma_f16 v3, v72, 2.0, -v0
	v_pack_b32_f16 v0, v0, v1
	v_and_b32_e32 v1, 0xffff, v4
	s_delay_alu instid0(VALU_DEP_3) | instskip(SKIP_1) | instid1(VALU_DEP_3)
	v_pack_b32_f16 v2, v3, v2
	v_lshrrev_b32_e32 v3, 16, v75
	v_lshlrev_b32_e32 v1, 2, v1
	ds_store_2addr_b32 v1, v2, v0 offset1:60
	v_lshrrev_b32_e32 v0, 16, v74
	v_lshrrev_b32_e32 v2, 16, v137
	scratch_store_b32 off, v1, off offset:244 ; 4-byte Folded Spill
	v_mul_f16_e32 v1, v0, v2
	v_mul_f16_e32 v2, v74, v2
	s_delay_alu instid0(VALU_DEP_2) | instskip(NEXT) | instid1(VALU_DEP_2)
	v_fma_f16 v1, v74, v137, -v1
	v_fmac_f16_e64 v2, v0, v137
	v_mad_u16 v0, 0x78, v95, v96
	v_lshrrev_b32_e32 v96, 18, v35
	v_sub_nc_u16 v95, v34, v55
	v_sub_f16_e32 v1, v75, v1
	v_sub_f16_e32 v2, v3, v2
	v_and_b32_e32 v0, 0xffff, v0
	v_mul_lo_u16 v57, 0x78, v96
	v_and_b32_e32 v55, 0xffff, v93
	v_fma_f16 v4, v75, 2.0, -v1
	v_fma_f16 v3, v3, 2.0, -v2
	v_pack_b32_f16 v1, v1, v2
	v_lshlrev_b32_e32 v0, 2, v0
	v_lshrrev_b32_e32 v2, 16, v134
	v_and_b32_e32 v56, 0xffff, v95
	v_pack_b32_f16 v3, v4, v3
	v_mad_u16 v4, 0x78, v97, v98
	scratch_store_b32 off, v0, off offset:248 ; 4-byte Folded Spill
	v_lshrrev_b32_e32 v98, 18, v32
	v_sub_nc_u16 v97, v33, v57
	ds_store_2addr_b32 v0, v3, v1 offset1:60
	v_lshrrev_b32_e32 v0, 16, v77
	v_mul_f16_e32 v1, v77, v2
	v_mul_lo_u16 v57, 0x78, v98
	v_lshlrev_b32_e32 v55, 2, v55
	v_lshlrev_b32_e32 v56, 2, v56
	s_delay_alu instid0(VALU_DEP_4) | instskip(SKIP_2) | instid1(VALU_DEP_2)
	v_fmac_f16_e64 v1, v0, v134
	v_mul_f16_e32 v0, v0, v2
	v_lshrrev_b32_e32 v2, 16, v76
	v_fma_f16 v0, v77, v134, -v0
	s_delay_alu instid0(VALU_DEP_2) | instskip(NEXT) | instid1(VALU_DEP_2)
	v_sub_f16_e32 v1, v2, v1
	v_sub_f16_e32 v0, v76, v0
	s_delay_alu instid0(VALU_DEP_2) | instskip(NEXT) | instid1(VALU_DEP_2)
	v_fma_f16 v2, v2, 2.0, -v1
	v_fma_f16 v3, v76, 2.0, -v0
	v_pack_b32_f16 v0, v0, v1
	v_and_b32_e32 v1, 0xffff, v4
	v_mad_u16 v4, 0x78, v99, v100
	v_sub_nc_u16 v99, v31, v57
	v_pack_b32_f16 v2, v3, v2
	v_and_b32_e32 v57, 0xffff, v97
	v_lshlrev_b32_e32 v1, 2, v1
	s_delay_alu instid0(VALU_DEP_4) | instskip(NEXT) | instid1(VALU_DEP_3)
	v_and_b32_e32 v59, 0xffff, v99
	v_lshlrev_b32_e32 v57, 2, v57
	ds_store_2addr_b32 v1, v2, v0 offset1:60
	v_lshrrev_b32_e32 v0, 16, v78
	v_lshrrev_b32_e32 v2, 16, v133
	scratch_store_b32 off, v1, off offset:252 ; 4-byte Folded Spill
	v_lshlrev_b32_e32 v59, 2, v59
	v_mul_f16_e32 v1, v0, v2
	v_mul_f16_e32 v2, v78, v2
	s_delay_alu instid0(VALU_DEP_2) | instskip(NEXT) | instid1(VALU_DEP_2)
	v_fma_f16 v1, v78, v133, -v1
	v_fmac_f16_e64 v2, v0, v133
	s_delay_alu instid0(VALU_DEP_2) | instskip(SKIP_1) | instid1(VALU_DEP_2)
	v_sub_f16_e32 v0, v27, v1
	v_lshrrev_b32_e32 v1, 16, v27
	v_fma_f16 v3, v27, 2.0, -v0
	s_delay_alu instid0(VALU_DEP_2) | instskip(NEXT) | instid1(VALU_DEP_1)
	v_sub_f16_e32 v2, v1, v2
	v_fma_f16 v1, v1, 2.0, -v2
	v_pack_b32_f16 v0, v0, v2
	v_and_b32_e32 v2, 0xffff, v4
	s_delay_alu instid0(VALU_DEP_3) | instskip(NEXT) | instid1(VALU_DEP_2)
	v_pack_b32_f16 v1, v3, v1
	v_lshlrev_b32_e32 v2, 2, v2
	ds_store_2addr_b32 v2, v1, v0 offset1:60
	v_add_co_u32 v0, s2, 0xffffff88, v228
	s_wait_alu 0xf1ff
	v_add_co_ci_u32_e64 v1, null, 0, -1, s2
	s_delay_alu instid0(VALU_DEP_2) | instskip(NEXT) | instid1(VALU_DEP_2)
	v_cndmask_b32_e32 v27, v0, v228, vcc_lo
	v_cndmask_b32_e64 v28, v1, 0, vcc_lo
	s_delay_alu instid0(VALU_DEP_1) | instskip(SKIP_1) | instid1(VALU_DEP_2)
	v_lshlrev_b64_e32 v[50:51], 2, v[27:28]
	v_mul_lo_u16 v28, 0x78, v79
	v_add_co_u32 v50, vcc_lo, s6, v50
	s_wait_alu 0xfffd
	s_delay_alu instid0(VALU_DEP_3)
	v_add_co_ci_u32_e32 v51, vcc_lo, s7, v51, vcc_lo
	v_cmp_lt_u32_e32 vcc_lo, 0x77, v228
	v_sub_nc_u16 v80, v21, v28
	v_mul_lo_u16 v28, 0x78, v81
	s_wait_alu 0xfffd
	v_cndmask_b32_e64 v0, 0, 0xf0, vcc_lo
	s_delay_alu instid0(VALU_DEP_2) | instskip(SKIP_1) | instid1(VALU_DEP_3)
	v_sub_nc_u16 v82, v46, v28
	v_and_b32_e32 v28, 0xffff, v80
	v_add_lshl_u32 v100, v27, v0, 2
	scratch_store_b32 off, v2, off offset:256 ; 4-byte Folded Spill
	v_lshrrev_b16 v2, 14, v23
	v_mul_u32_u24_e32 v0, 0x223, v29
	v_lshlrev_b32_e32 v28, 2, v28
	scratch_store_b32 off, v100, off offset:260 ; 4-byte Folded Spill
	global_wb scope:SCOPE_SE
	s_wait_storecnt_dscnt 0x0
	s_barrier_signal -1
	s_barrier_wait -1
	global_inv scope:SCOPE_SE
	global_load_b32 v224, v[50:51], off offset:440
	v_mul_lo_u16 v3, 0x78, v2
	v_lshrrev_b32_e32 v0, 16, v0
	v_and_b32_e32 v2, 0xffff, v2
	s_delay_alu instid0(VALU_DEP_3) | instskip(NEXT) | instid1(VALU_DEP_3)
	v_sub_nc_u16 v3, v22, v3
	v_mul_lo_u16 v1, 0x78, v0
	s_delay_alu instid0(VALU_DEP_3) | instskip(NEXT) | instid1(VALU_DEP_3)
	v_mul_u32_u24_e32 v2, 0xf0, v2
	v_and_b32_e32 v3, 0xff, v3
	s_delay_alu instid0(VALU_DEP_3) | instskip(SKIP_1) | instid1(VALU_DEP_3)
	v_sub_nc_u16 v1, v29, v1
	v_mul_u32_u24_e32 v29, 0x223, v24
	v_lshlrev_b32_e32 v4, 2, v3
	s_delay_alu instid0(VALU_DEP_3)
	v_and_b32_e32 v25, 0xffff, v1
	v_mad_u16 v0, 0xf0, v0, v1
	global_load_b32 v213, v4, s[6:7] offset:440
	v_lshlrev_b32_e32 v25, 2, v25
	v_and_b32_e32 v0, 0xffff, v0
	global_load_b32 v215, v25, s[6:7] offset:440
	v_lshrrev_b32_e32 v4, 16, v29
	v_mul_lo_u16 v50, 0x78, v83
	v_and_b32_e32 v25, 0xffff, v82
	v_lshlrev_b32_e32 v0, 2, v0
	s_delay_alu instid0(VALU_DEP_4) | instskip(NEXT) | instid1(VALU_DEP_4)
	v_mul_lo_u16 v23, 0x78, v4
	v_sub_nc_u16 v84, v47, v50
	v_mul_lo_u16 v50, 0x78, v85
	v_lshlrev_b32_e32 v25, 2, v25
	s_delay_alu instid0(VALU_DEP_4) | instskip(NEXT) | instid1(VALU_DEP_3)
	v_sub_nc_u16 v23, v24, v23
	v_sub_nc_u16 v86, v26, v50
	v_and_b32_e32 v50, 0xffff, v84
	s_delay_alu instid0(VALU_DEP_3) | instskip(SKIP_1) | instid1(VALU_DEP_4)
	v_and_b32_e32 v27, 0xffff, v23
	v_mad_u16 v4, 0xf0, v4, v23
	v_and_b32_e32 v51, 0xffff, v86
	s_delay_alu instid0(VALU_DEP_4) | instskip(NEXT) | instid1(VALU_DEP_4)
	v_lshlrev_b32_e32 v50, 2, v50
	v_lshlrev_b32_e32 v27, 2, v27
	s_delay_alu instid0(VALU_DEP_3)
	v_lshlrev_b32_e32 v51, 2, v51
	s_clause 0x4
	global_load_b32 v217, v27, s[6:7] offset:440
	global_load_b32 v212, v28, s[6:7] offset:440
	;; [unrolled: 1-line block ×5, first 2 shown]
	ds_load_2addr_stride64_b32 v[27:28], v58 offset0:28 offset1:30
	ds_load_2addr_stride64_b32 v[50:51], v58 offset1:2
	s_wait_dscnt 0x1
	v_lshrrev_b32_e32 v25, 16, v28
	s_wait_loadcnt 0x7
	v_lshrrev_b32_e32 v183, 16, v224
	s_delay_alu instid0(VALU_DEP_1) | instskip(NEXT) | instid1(VALU_DEP_1)
	v_mul_f16_e64 v52, v28, v183
	v_fmac_f16_e64 v52, v25, v224
	v_mul_f16_e64 v25, v25, v183
	s_delay_alu instid0(VALU_DEP_1) | instskip(SKIP_2) | instid1(VALU_DEP_2)
	v_fma_f16 v25, v28, v224, -v25
	s_wait_dscnt 0x0
	v_lshrrev_b32_e32 v28, 16, v50
	v_sub_f16_e32 v25, v50, v25
	s_delay_alu instid0(VALU_DEP_2) | instskip(NEXT) | instid1(VALU_DEP_2)
	v_sub_f16_e32 v52, v28, v52
	v_fma_f16 v50, v50, 2.0, -v25
	s_delay_alu instid0(VALU_DEP_2) | instskip(SKIP_3) | instid1(VALU_DEP_3)
	v_fma_f16 v28, v28, 2.0, -v52
	v_pack_b32_f16 v25, v25, v52
	s_wait_loadcnt 0x5
	v_lshrrev_b32_e32 v229, 16, v215
	v_pack_b32_f16 v28, v50, v28
	v_lshrrev_b32_e32 v50, 18, v44
	s_delay_alu instid0(VALU_DEP_1) | instskip(NEXT) | instid1(VALU_DEP_1)
	v_mul_lo_u16 v52, 0x78, v50
	v_sub_nc_u16 v87, v43, v52
	s_delay_alu instid0(VALU_DEP_1)
	v_and_b32_e32 v52, 0xffff, v87
	s_wait_loadcnt 0x4
	v_lshrrev_b32_e32 v231, 16, v217
	s_wait_loadcnt 0x3
	v_lshrrev_b32_e32 v233, 16, v212
	s_wait_loadcnt 0x2
	v_lshrrev_b32_e32 v236, 16, v210
	s_wait_loadcnt 0x1
	v_lshrrev_b32_e32 v239, 16, v208
	v_lshlrev_b32_e32 v52, 2, v52
	s_clause 0x6
	global_load_b32 v214, v52, s[6:7] offset:440
	global_load_b32 v211, v53, s[6:7] offset:440
	global_load_b32 v209, v54, s[6:7] offset:440
	global_load_b32 v207, v55, s[6:7] offset:440
	global_load_b32 v205, v56, s[6:7] offset:440
	global_load_b32 v204, v57, s[6:7] offset:440
	global_load_b32 v202, v59, s[6:7] offset:440
	ds_load_2addr_stride64_b32 v[52:53], v58 offset0:32 offset1:34
	ds_load_2addr_stride64_b32 v[54:55], v58 offset0:4 offset1:6
	ds_load_2addr_stride64_b32 v[56:57], v58 offset0:36 offset1:38
	ds_load_2addr_stride64_b32 v[59:60], v58 offset0:8 offset1:10
	ds_load_2addr_stride64_b32 v[61:62], v58 offset0:40 offset1:42
	ds_load_2addr_stride64_b32 v[63:64], v58 offset0:12 offset1:14
	ds_load_2addr_stride64_b32 v[65:66], v58 offset0:44 offset1:46
	ds_load_2addr_stride64_b32 v[67:68], v58 offset0:16 offset1:18
	ds_load_2addr_stride64_b32 v[69:70], v58 offset0:48 offset1:50
	ds_load_2addr_stride64_b32 v[71:72], v58 offset0:20 offset1:22
	ds_load_2addr_stride64_b32 v[73:74], v58 offset0:52 offset1:54
	ds_load_2addr_stride64_b32 v[75:76], v58 offset0:24 offset1:26
	ds_load_2addr_stride64_b32 v[77:78], v58 offset0:56 offset1:58
	global_wb scope:SCOPE_SE
	s_wait_loadcnt_dscnt 0x0
	s_barrier_signal -1
	s_barrier_wait -1
	global_inv scope:SCOPE_SE
	ds_store_2addr_b32 v100, v28, v25 offset1:120
	v_lshrrev_b32_e32 v100, 16, v213
	scratch_store_b32 off, v0, off offset:268 ; 4-byte Folded Spill
	v_lshrrev_b32_e32 v25, 16, v52
	v_lshrrev_b32_e32 v1, 16, v54
	;; [unrolled: 1-line block ×3, first 2 shown]
	v_mul_f16_e32 v28, v52, v100
	s_delay_alu instid0(VALU_DEP_1) | instskip(SKIP_2) | instid1(VALU_DEP_2)
	v_fmac_f16_e64 v28, v25, v213
	v_mul_f16_e32 v25, v25, v100
	v_add_lshl_u32 v100, v2, v3, 2
	v_fma_f16 v25, v52, v213, -v25
	v_lshrrev_b32_e32 v52, 16, v51
	scratch_store_b32 off, v100, off offset:264 ; 4-byte Folded Spill
	v_sub_f16_e32 v25, v51, v25
	v_sub_f16_e32 v2, v52, v28
	s_delay_alu instid0(VALU_DEP_2) | instskip(NEXT) | instid1(VALU_DEP_2)
	v_fma_f16 v51, v51, 2.0, -v25
	v_fma_f16 v3, v52, 2.0, -v2
	v_pack_b32_f16 v2, v25, v2
	v_mul_f16_e64 v25, v53, v229
	s_delay_alu instid0(VALU_DEP_3) | instskip(SKIP_2) | instid1(VALU_DEP_1)
	v_pack_b32_f16 v3, v51, v3
	ds_store_2addr_b32 v100, v3, v2 offset1:120
	v_lshrrev_b32_e32 v2, 16, v53
	v_mul_f16_e64 v3, v2, v229
	v_fmac_f16_e64 v25, v2, v215
	s_delay_alu instid0(VALU_DEP_2) | instskip(NEXT) | instid1(VALU_DEP_2)
	v_fma_f16 v3, v53, v215, -v3
	v_sub_f16_e32 v2, v1, v25
	s_delay_alu instid0(VALU_DEP_2) | instskip(NEXT) | instid1(VALU_DEP_2)
	v_sub_f16_e32 v3, v54, v3
	v_fma_f16 v1, v1, 2.0, -v2
	s_delay_alu instid0(VALU_DEP_2) | instskip(SKIP_1) | instid1(VALU_DEP_2)
	v_fma_f16 v25, v54, 2.0, -v3
	v_pack_b32_f16 v2, v3, v2
	v_pack_b32_f16 v1, v25, v1
	v_mov_b32_e32 v25, 0
	ds_store_2addr_b32 v0, v1, v2 offset1:120
	v_lshrrev_b32_e32 v0, 16, v56
	v_mul_f16_e64 v1, v56, v231
	v_lshrrev_b32_e32 v2, 16, v55
	v_mov_b32_e32 v23, v25
	s_delay_alu instid0(VALU_DEP_3) | instskip(SKIP_1) | instid1(VALU_DEP_3)
	v_fmac_f16_e64 v1, v0, v217
	v_mul_f16_e64 v0, v0, v231
	v_cmp_gt_u64_e32 vcc_lo, 0xf0, v[22:23]
	s_delay_alu instid0(VALU_DEP_3) | instskip(NEXT) | instid1(VALU_DEP_3)
	v_sub_f16_e32 v1, v2, v1
	v_fma_f16 v0, v56, v217, -v0
	s_delay_alu instid0(VALU_DEP_2) | instskip(NEXT) | instid1(VALU_DEP_2)
	v_fma_f16 v2, v2, 2.0, -v1
	v_sub_f16_e32 v0, v55, v0
	s_delay_alu instid0(VALU_DEP_1) | instskip(SKIP_2) | instid1(VALU_DEP_3)
	v_fma_f16 v3, v55, 2.0, -v0
	v_pack_b32_f16 v0, v0, v1
	v_and_b32_e32 v1, 0xffff, v4
	v_pack_b32_f16 v2, v3, v2
	v_lshrrev_b32_e32 v3, 16, v59
	s_delay_alu instid0(VALU_DEP_3)
	v_lshlrev_b32_e32 v1, 2, v1
	ds_store_2addr_b32 v1, v2, v0 offset1:120
	v_lshrrev_b32_e32 v0, 16, v57
	scratch_store_b32 off, v1, off offset:272 ; 4-byte Folded Spill
	v_mul_f16_e64 v2, v57, v233
	v_mul_f16_e64 v1, v0, v233
	s_delay_alu instid0(VALU_DEP_2) | instskip(SKIP_1) | instid1(VALU_DEP_3)
	v_fmac_f16_e64 v2, v0, v212
	v_mad_u16 v0, 0xf0, v79, v80
	v_fma_f16 v1, v57, v212, -v1
	s_delay_alu instid0(VALU_DEP_3) | instskip(NEXT) | instid1(VALU_DEP_3)
	v_sub_f16_e32 v2, v3, v2
	v_and_b32_e32 v0, 0xffff, v0
	s_delay_alu instid0(VALU_DEP_3) | instskip(NEXT) | instid1(VALU_DEP_3)
	v_sub_f16_e32 v1, v59, v1
	v_fma_f16 v3, v3, 2.0, -v2
	s_delay_alu instid0(VALU_DEP_3) | instskip(NEXT) | instid1(VALU_DEP_3)
	v_lshlrev_b32_e32 v0, 2, v0
	v_fma_f16 v4, v59, 2.0, -v1
	v_pack_b32_f16 v1, v1, v2
	v_lshrrev_b32_e32 v2, 16, v60
	scratch_store_b32 off, v0, off offset:276 ; 4-byte Folded Spill
	v_pack_b32_f16 v3, v4, v3
	v_mad_u16 v4, 0xf0, v81, v82
	ds_store_2addr_b32 v0, v3, v1 offset1:120
	v_lshrrev_b32_e32 v0, 16, v61
	v_mul_f16_e64 v1, v61, v236
	s_delay_alu instid0(VALU_DEP_1) | instskip(SKIP_1) | instid1(VALU_DEP_2)
	v_fmac_f16_e64 v1, v0, v210
	v_mul_f16_e64 v0, v0, v236
	v_sub_f16_e32 v1, v2, v1
	s_delay_alu instid0(VALU_DEP_2) | instskip(NEXT) | instid1(VALU_DEP_2)
	v_fma_f16 v0, v61, v210, -v0
	v_fma_f16 v2, v2, 2.0, -v1
	s_delay_alu instid0(VALU_DEP_2) | instskip(NEXT) | instid1(VALU_DEP_1)
	v_sub_f16_e32 v0, v60, v0
	v_fma_f16 v3, v60, 2.0, -v0
	v_pack_b32_f16 v0, v0, v1
	v_and_b32_e32 v1, 0xffff, v4
	s_delay_alu instid0(VALU_DEP_3) | instskip(SKIP_1) | instid1(VALU_DEP_3)
	v_pack_b32_f16 v2, v3, v2
	v_lshrrev_b32_e32 v3, 16, v63
	v_lshlrev_b32_e32 v1, 2, v1
	ds_store_2addr_b32 v1, v2, v0 offset1:120
	v_lshrrev_b32_e32 v0, 16, v62
	scratch_store_b32 off, v1, off offset:280 ; 4-byte Folded Spill
	v_mul_f16_e64 v2, v62, v239
	v_mul_f16_e64 v1, v0, v239
	s_delay_alu instid0(VALU_DEP_2) | instskip(SKIP_1) | instid1(VALU_DEP_3)
	v_fmac_f16_e64 v2, v0, v208
	v_mad_u16 v0, 0xf0, v83, v84
	v_fma_f16 v1, v62, v208, -v1
	s_delay_alu instid0(VALU_DEP_3) | instskip(NEXT) | instid1(VALU_DEP_3)
	v_sub_f16_e32 v2, v3, v2
	v_and_b32_e32 v0, 0xffff, v0
	s_delay_alu instid0(VALU_DEP_3) | instskip(NEXT) | instid1(VALU_DEP_3)
	v_sub_f16_e32 v1, v63, v1
	v_fma_f16 v3, v3, 2.0, -v2
	s_delay_alu instid0(VALU_DEP_3) | instskip(NEXT) | instid1(VALU_DEP_3)
	v_lshlrev_b32_e32 v0, 2, v0
	v_fma_f16 v4, v63, 2.0, -v1
	v_pack_b32_f16 v1, v1, v2
	v_lshrrev_b32_e32 v2, 16, v64
	scratch_store_b32 off, v0, off offset:284 ; 4-byte Folded Spill
	v_lshrrev_b32_e32 v63, 19, v42
	v_pack_b32_f16 v3, v4, v3
	v_mad_u16 v4, 0xf0, v85, v86
	s_delay_alu instid0(VALU_DEP_3) | instskip(SKIP_3) | instid1(VALU_DEP_1)
	v_mul_lo_u16 v52, 0xf0, v63
	ds_store_2addr_b32 v0, v3, v1 offset1:120
	v_lshrrev_b32_e32 v0, 16, v65
	v_mul_f16_e64 v1, v65, v241
	v_fmac_f16_e64 v1, v0, v206
	v_mul_f16_e64 v0, v0, v241
	s_delay_alu instid0(VALU_DEP_2) | instskip(NEXT) | instid1(VALU_DEP_2)
	v_sub_f16_e32 v1, v2, v1
	v_fma_f16 v0, v65, v206, -v0
	s_delay_alu instid0(VALU_DEP_2) | instskip(NEXT) | instid1(VALU_DEP_2)
	v_fma_f16 v2, v2, 2.0, -v1
	v_sub_f16_e32 v0, v64, v0
	s_delay_alu instid0(VALU_DEP_1) | instskip(SKIP_2) | instid1(VALU_DEP_3)
	v_fma_f16 v3, v64, 2.0, -v0
	v_pack_b32_f16 v0, v0, v1
	v_and_b32_e32 v1, 0xffff, v4
	v_pack_b32_f16 v2, v3, v2
	v_lshrrev_b32_e32 v3, 16, v67
	s_delay_alu instid0(VALU_DEP_3)
	v_lshlrev_b32_e32 v1, 2, v1
	ds_store_2addr_b32 v1, v2, v0 offset1:120
	v_lshrrev_b32_e32 v0, 16, v66
	scratch_store_b32 off, v1, off offset:288 ; 4-byte Folded Spill
	v_lshrrev_b32_e32 v244, 16, v214
	v_lshrrev_b32_e32 v246, 16, v211
	;; [unrolled: 1-line block ×5, first 2 shown]
	v_mul_f16_e64 v1, v0, v244
	v_mul_f16_e64 v2, v66, v244
	v_lshrrev_b32_e32 v185, 16, v204
	v_lshrrev_b32_e32 v184, 16, v202
	s_delay_alu instid0(VALU_DEP_4) | instskip(NEXT) | instid1(VALU_DEP_4)
	v_fma_f16 v1, v66, v214, -v1
	v_fmac_f16_e64 v2, v0, v214
	v_mad_u16 v0, 0xf0, v50, v87
	v_sub_nc_u16 v66, v41, v52
	s_delay_alu instid0(VALU_DEP_4) | instskip(NEXT) | instid1(VALU_DEP_4)
	v_sub_f16_e32 v1, v67, v1
	v_sub_f16_e32 v2, v3, v2
	s_delay_alu instid0(VALU_DEP_4) | instskip(NEXT) | instid1(VALU_DEP_3)
	v_and_b32_e32 v0, 0xffff, v0
	v_fma_f16 v4, v67, 2.0, -v1
	s_delay_alu instid0(VALU_DEP_3) | instskip(SKIP_1) | instid1(VALU_DEP_4)
	v_fma_f16 v3, v3, 2.0, -v2
	v_pack_b32_f16 v1, v1, v2
	v_lshlrev_b32_e32 v0, 2, v0
	v_lshrrev_b32_e32 v2, 16, v68
	s_delay_alu instid0(VALU_DEP_4)
	v_pack_b32_f16 v3, v4, v3
	v_mad_u16 v4, 0xf0, v88, v89
	scratch_store_b32 off, v0, off offset:292 ; 4-byte Folded Spill
	ds_store_2addr_b32 v0, v3, v1 offset1:120
	v_lshrrev_b32_e32 v0, 16, v69
	v_mul_f16_e64 v1, v69, v246
	s_delay_alu instid0(VALU_DEP_1) | instskip(SKIP_1) | instid1(VALU_DEP_2)
	v_fmac_f16_e64 v1, v0, v211
	v_mul_f16_e64 v0, v0, v246
	v_sub_f16_e32 v1, v2, v1
	s_delay_alu instid0(VALU_DEP_2) | instskip(NEXT) | instid1(VALU_DEP_2)
	v_fma_f16 v0, v69, v211, -v0
	v_fma_f16 v2, v2, 2.0, -v1
	s_delay_alu instid0(VALU_DEP_2) | instskip(NEXT) | instid1(VALU_DEP_1)
	v_sub_f16_e32 v0, v68, v0
	v_fma_f16 v3, v68, 2.0, -v0
	v_pack_b32_f16 v0, v0, v1
	v_and_b32_e32 v1, 0xffff, v4
	s_delay_alu instid0(VALU_DEP_3) | instskip(SKIP_1) | instid1(VALU_DEP_3)
	v_pack_b32_f16 v2, v3, v2
	v_lshrrev_b32_e32 v3, 16, v71
	v_lshlrev_b32_e32 v1, 2, v1
	ds_store_2addr_b32 v1, v2, v0 offset1:120
	v_lshrrev_b32_e32 v0, 16, v70
	scratch_store_b32 off, v1, off offset:296 ; 4-byte Folded Spill
	v_mul_f16_e64 v2, v70, v249
	v_mul_f16_e64 v1, v0, v249
	s_delay_alu instid0(VALU_DEP_2) | instskip(SKIP_1) | instid1(VALU_DEP_3)
	v_fmac_f16_e64 v2, v0, v209
	v_mad_u16 v0, 0xf0, v90, v91
	v_fma_f16 v1, v70, v209, -v1
	s_delay_alu instid0(VALU_DEP_3) | instskip(NEXT) | instid1(VALU_DEP_3)
	v_sub_f16_e32 v2, v3, v2
	v_and_b32_e32 v0, 0xffff, v0
	s_delay_alu instid0(VALU_DEP_3) | instskip(NEXT) | instid1(VALU_DEP_3)
	v_sub_f16_e32 v1, v71, v1
	v_fma_f16 v3, v3, 2.0, -v2
	s_delay_alu instid0(VALU_DEP_3) | instskip(NEXT) | instid1(VALU_DEP_3)
	v_lshlrev_b32_e32 v0, 2, v0
	v_fma_f16 v4, v71, 2.0, -v1
	v_pack_b32_f16 v1, v1, v2
	v_lshrrev_b32_e32 v2, 16, v72
	scratch_store_b32 off, v0, off offset:300 ; 4-byte Folded Spill
	v_pack_b32_f16 v3, v4, v3
	v_mad_u16 v4, 0xf0, v92, v93
	ds_store_2addr_b32 v0, v3, v1 offset1:120
	v_lshrrev_b32_e32 v0, 16, v73
	v_mul_f16_e64 v1, v73, v252
	s_delay_alu instid0(VALU_DEP_1) | instskip(SKIP_1) | instid1(VALU_DEP_2)
	v_fmac_f16_e64 v1, v0, v207
	v_mul_f16_e64 v0, v0, v252
	v_sub_f16_e32 v1, v2, v1
	s_delay_alu instid0(VALU_DEP_2) | instskip(NEXT) | instid1(VALU_DEP_2)
	v_fma_f16 v0, v73, v207, -v0
	v_fma_f16 v2, v2, 2.0, -v1
	s_delay_alu instid0(VALU_DEP_2) | instskip(NEXT) | instid1(VALU_DEP_1)
	v_sub_f16_e32 v0, v72, v0
	v_fma_f16 v3, v72, 2.0, -v0
	v_pack_b32_f16 v0, v0, v1
	v_and_b32_e32 v1, 0xffff, v4
	s_delay_alu instid0(VALU_DEP_3) | instskip(SKIP_1) | instid1(VALU_DEP_3)
	v_pack_b32_f16 v2, v3, v2
	v_lshrrev_b32_e32 v3, 16, v75
	v_lshlrev_b32_e32 v1, 2, v1
	ds_store_2addr_b32 v1, v2, v0 offset1:120
	v_lshrrev_b32_e32 v0, 16, v74
	scratch_store_b32 off, v1, off offset:304 ; 4-byte Folded Spill
	v_mul_f16_e64 v2, v74, v254
	v_mul_f16_e64 v1, v0, v254
	s_delay_alu instid0(VALU_DEP_2) | instskip(SKIP_2) | instid1(VALU_DEP_4)
	v_fmac_f16_e64 v2, v0, v205
	v_mad_u16 v0, 0xf0, v94, v95
	v_lshrrev_b32_e32 v94, 19, v40
	v_fma_f16 v1, v74, v205, -v1
	s_delay_alu instid0(VALU_DEP_4) | instskip(NEXT) | instid1(VALU_DEP_4)
	v_sub_f16_e32 v2, v3, v2
	v_and_b32_e32 v0, 0xffff, v0
	s_delay_alu instid0(VALU_DEP_4) | instskip(NEXT) | instid1(VALU_DEP_4)
	v_mul_lo_u16 v52, 0xf0, v94
	v_sub_f16_e32 v1, v75, v1
	s_delay_alu instid0(VALU_DEP_4) | instskip(NEXT) | instid1(VALU_DEP_4)
	v_fma_f16 v3, v3, 2.0, -v2
	v_lshlrev_b32_e32 v0, 2, v0
	s_delay_alu instid0(VALU_DEP_4) | instskip(NEXT) | instid1(VALU_DEP_4)
	v_sub_nc_u16 v95, v38, v52
	v_fma_f16 v4, v75, 2.0, -v1
	v_pack_b32_f16 v1, v1, v2
	v_lshrrev_b32_e32 v2, 16, v76
	scratch_store_b32 off, v0, off offset:308 ; 4-byte Folded Spill
	v_lshrrev_b32_e32 v52, 19, v32
	v_pack_b32_f16 v3, v4, v3
	v_mad_u16 v4, 0xf0, v96, v97
	v_lshrrev_b32_e32 v96, 19, v35
	s_delay_alu instid0(VALU_DEP_4)
	v_mul_lo_u16 v52, 0xf0, v52
	ds_store_2addr_b32 v0, v3, v1 offset1:120
	v_lshrrev_b32_e32 v0, 16, v77
	v_mul_f16_e64 v1, v77, v185
	v_mul_lo_u16 v53, 0xf0, v96
	v_sub_nc_u16 v52, v31, v52
	s_delay_alu instid0(VALU_DEP_3) | instskip(SKIP_1) | instid1(VALU_DEP_4)
	v_fmac_f16_e64 v1, v0, v204
	v_mul_f16_e64 v0, v0, v185
	v_sub_nc_u16 v97, v33, v53
	v_and_b32_e32 v53, 0xffff, v95
	v_and_b32_e32 v52, 0xffff, v52
	v_sub_f16_e32 v1, v2, v1
	v_fma_f16 v0, v77, v204, -v0
	v_and_b32_e32 v54, 0xffff, v97
	v_lshlrev_b32_e32 v53, 2, v53
	s_delay_alu instid0(VALU_DEP_4) | instskip(NEXT) | instid1(VALU_DEP_4)
	v_fma_f16 v2, v2, 2.0, -v1
	v_sub_f16_e32 v0, v76, v0
	s_delay_alu instid0(VALU_DEP_4) | instskip(NEXT) | instid1(VALU_DEP_2)
	v_lshlrev_b32_e32 v54, 2, v54
	v_fma_f16 v3, v76, 2.0, -v0
	v_pack_b32_f16 v0, v0, v1
	v_and_b32_e32 v1, 0xffff, v4
	v_mad_u16 v4, 0xf0, v98, v99
	v_lshlrev_b32_e32 v99, 2, v52
	v_pack_b32_f16 v2, v3, v2
	s_delay_alu instid0(VALU_DEP_4)
	v_lshlrev_b32_e32 v1, 2, v1
	ds_store_2addr_b32 v1, v2, v0 offset1:120
	v_lshrrev_b32_e32 v0, 16, v78
	scratch_store_b32 off, v1, off offset:312 ; 4-byte Folded Spill
	v_mul_f16_e64 v2, v78, v184
	v_mul_f16_e64 v1, v0, v184
	s_delay_alu instid0(VALU_DEP_2) | instskip(NEXT) | instid1(VALU_DEP_2)
	v_fmac_f16_e64 v2, v0, v202
	v_fma_f16 v1, v78, v202, -v1
	s_delay_alu instid0(VALU_DEP_1) | instskip(SKIP_1) | instid1(VALU_DEP_2)
	v_sub_f16_e32 v0, v27, v1
	v_lshrrev_b32_e32 v1, 16, v27
	v_fma_f16 v3, v27, 2.0, -v0
	s_delay_alu instid0(VALU_DEP_2) | instskip(NEXT) | instid1(VALU_DEP_1)
	v_sub_f16_e32 v2, v1, v2
	v_fma_f16 v1, v1, 2.0, -v2
	v_pack_b32_f16 v0, v0, v2
	v_and_b32_e32 v2, 0xffff, v4
	v_lshrrev_b32_e32 v4, 17, v29
	s_delay_alu instid0(VALU_DEP_4) | instskip(SKIP_1) | instid1(VALU_DEP_4)
	v_pack_b32_f16 v1, v3, v1
	v_lshrrev_b32_e32 v3, 18, v49
	v_lshlrev_b32_e32 v2, 2, v2
	v_lshrrev_b32_e32 v49, 18, v30
	s_delay_alu instid0(VALU_DEP_3)
	v_mul_lo_u16 v3, 0xf0, v3
	ds_store_2addr_b32 v2, v1, v0 offset1:120
	v_add_co_u32 v0, s2, 0xffffff90, v228
	s_wait_alu 0xf1ff
	v_add_co_ci_u32_e64 v1, null, 0, -1, s2
	v_sub_nc_u16 v3, v47, v3
	s_wait_alu 0xfffd
	v_cndmask_b32_e32 v27, v0, v22, vcc_lo
	v_lshrrev_b32_e32 v0, 18, v45
	v_cndmask_b32_e64 v28, v1, 0, vcc_lo
	scratch_store_b32 off, v2, off offset:316 ; 4-byte Folded Spill
	v_and_b32_e32 v3, 0xffff, v3
	global_wb scope:SCOPE_SE
	s_wait_storecnt_dscnt 0x0
	v_mul_lo_u16 v0, 0xf0, v0
	v_lshlrev_b64_e32 v[50:51], 2, v[27:28]
	s_barrier_signal -1
	v_lshlrev_b32_e32 v3, 2, v3
	s_barrier_wait -1
	v_sub_nc_u16 v0, v21, v0
	v_mul_lo_u16 v21, 0xf0, v4
	v_add_co_u32 v50, vcc_lo, s6, v50
	s_wait_alu 0xfffd
	v_add_co_ci_u32_e32 v51, vcc_lo, s7, v51, vcc_lo
	s_delay_alu instid0(VALU_DEP_3)
	v_sub_nc_u16 v21, v24, v21
	v_and_b32_e32 v0, 0xffff, v0
	global_inv scope:SCOPE_SE
	global_load_b32 v75, v[50:51], off offset:920
	v_lshrrev_b32_e32 v1, 18, v48
	v_and_b32_e32 v28, 0xffff, v21
	v_lshlrev_b32_e32 v0, 2, v0
	v_lshrrev_b32_e32 v51, 19, v39
	v_cmp_lt_u64_e32 vcc_lo, 0xef, v[22:23]
	v_mul_lo_u16 v2, 0xf0, v1
	v_lshlrev_b32_e32 v28, 2, v28
	s_clause 0x4
	global_load_b32 v72, v28, s[6:7] offset:920
	global_load_b32 v50, v58, s[6:7] offset:920
	;; [unrolled: 1-line block ×5, first 2 shown]
	ds_load_2addr_stride64_b32 v[28:29], v58 offset0:28 offset1:30
	v_sub_nc_u16 v2, v46, v2
	v_mul_lo_u16 v51, 0xf0, v51
	s_wait_alu 0xfffd
	v_cndmask_b32_e64 v22, 0, 0x1e0, vcc_lo
	v_mad_u16 v4, 0x1e0, v4, v21
	v_add_nc_u32_e32 v0, 0xf00, v0
	v_mad_u16 v1, 0x1e0, v1, v2
	v_cmp_gt_u64_e32 vcc_lo, 0x1e0, v[24:25]
	s_delay_alu instid0(VALU_DEP_4) | instskip(NEXT) | instid1(VALU_DEP_3)
	v_and_b32_e32 v4, 0xffff, v4
	v_and_b32_e32 v1, 0xffff, v1
	s_delay_alu instid0(VALU_DEP_2) | instskip(NEXT) | instid1(VALU_DEP_2)
	v_lshlrev_b32_e32 v4, 2, v4
	v_lshlrev_b32_e32 v1, 2, v1
	s_wait_dscnt 0x0
	v_lshrrev_b32_e32 v45, 16, v29
	s_wait_loadcnt 0x5
	v_lshrrev_b32_e32 v164, 16, v75
	s_wait_loadcnt 0x4
	;; [unrolled: 2-line block ×6, first 2 shown]
	v_lshrrev_b32_e32 v162, 16, v64
	v_mul_f16_e32 v47, v29, v125
	s_delay_alu instid0(VALU_DEP_1) | instskip(SKIP_1) | instid1(VALU_DEP_1)
	v_fmac_f16_e32 v47, v45, v50
	v_mul_f16_e32 v45, v45, v125
	v_fma_f16 v29, v29, v50, -v45
	ds_load_2addr_stride64_b32 v[45:46], v58 offset1:2
	s_wait_dscnt 0x0
	v_lshrrev_b32_e32 v48, 16, v45
	v_sub_f16_e32 v29, v45, v29
	s_delay_alu instid0(VALU_DEP_2) | instskip(NEXT) | instid1(VALU_DEP_2)
	v_sub_f16_e32 v47, v48, v47
	v_fma_f16 v45, v45, 2.0, -v29
	s_delay_alu instid0(VALU_DEP_2) | instskip(SKIP_2) | instid1(VALU_DEP_3)
	v_fma_f16 v48, v48, 2.0, -v47
	v_pack_b32_f16 v29, v29, v47
	v_and_b32_e32 v47, 0xffff, v2
	v_pack_b32_f16 v45, v45, v48
	v_mul_lo_u16 v48, 0xf0, v49
	s_delay_alu instid0(VALU_DEP_3) | instskip(NEXT) | instid1(VALU_DEP_2)
	v_lshlrev_b32_e32 v47, 2, v47
	v_sub_nc_u16 v57, v26, v48
	global_load_b32 v67, v47, s[6:7] offset:920
	v_and_b32_e32 v48, 0xffff, v57
	s_delay_alu instid0(VALU_DEP_1) | instskip(SKIP_3) | instid1(VALU_DEP_2)
	v_lshlrev_b32_e32 v48, 2, v48
	global_load_b32 v70, v48, s[6:7] offset:920
	v_lshrrev_b32_e32 v47, 19, v44
	v_and_b32_e32 v48, 0xffff, v66
	v_mul_lo_u16 v47, 0xf0, v47
	s_delay_alu instid0(VALU_DEP_2) | instskip(NEXT) | instid1(VALU_DEP_2)
	v_lshlrev_b32_e32 v48, 2, v48
	v_sub_nc_u16 v47, v43, v47
	s_delay_alu instid0(VALU_DEP_1) | instskip(NEXT) | instid1(VALU_DEP_1)
	v_and_b32_e32 v47, 0xffff, v47
	v_lshlrev_b32_e32 v74, 2, v47
	v_sub_nc_u16 v47, v37, v51
	v_lshrrev_b32_e32 v51, 19, v36
	s_delay_alu instid0(VALU_DEP_2) | instskip(NEXT) | instid1(VALU_DEP_2)
	v_and_b32_e32 v47, 0xffff, v47
	v_mul_lo_u16 v51, 0xf0, v51
	s_delay_alu instid0(VALU_DEP_2) | instskip(NEXT) | instid1(VALU_DEP_2)
	v_lshlrev_b32_e32 v98, 2, v47
	v_sub_nc_u16 v51, v34, v51
	s_delay_alu instid0(VALU_DEP_1) | instskip(NEXT) | instid1(VALU_DEP_1)
	v_and_b32_e32 v51, 0xffff, v51
	v_lshlrev_b32_e32 v100, 2, v51
	s_clause 0x6
	global_load_b32 v76, v53, s[6:7] offset:920
	global_load_b32 v69, v48, s[6:7] offset:920
	;; [unrolled: 1-line block ×7, first 2 shown]
	ds_load_2addr_stride64_b32 v[47:48], v58 offset0:32 offset1:34
	ds_load_2addr_stride64_b32 v[51:52], v58 offset0:4 offset1:6
	;; [unrolled: 1-line block ×13, first 2 shown]
	global_wb scope:SCOPE_SE
	s_wait_loadcnt_dscnt 0x0
	s_barrier_signal -1
	s_barrier_wait -1
	global_inv scope:SCOPE_SE
	ds_store_2addr_b32 v58, v45, v29 offset1:240
	v_add_lshl_u32 v45, v22, v27, 2
	v_lshrrev_b32_e32 v27, 16, v46
	v_lshrrev_b32_e32 v22, 16, v47
	v_mul_f16_e64 v23, v47, v164
	s_clause 0x2
	scratch_store_b32 off, v4, off offset:344
	scratch_store_b32 off, v0, off offset:348
	;; [unrolled: 1-line block ×3, first 2 shown]
	v_fmac_f16_e32 v23, v22, v75
	v_mul_f16_e64 v22, v22, v164
	s_delay_alu instid0(VALU_DEP_2) | instskip(NEXT) | instid1(VALU_DEP_2)
	v_sub_f16_e32 v23, v27, v23
	v_fma_f16 v22, v47, v75, -v22
	v_lshrrev_b32_e32 v47, 19, v30
	s_delay_alu instid0(VALU_DEP_3) | instskip(NEXT) | instid1(VALU_DEP_3)
	v_fma_f16 v27, v27, 2.0, -v23
	v_sub_f16_e32 v22, v46, v22
	s_delay_alu instid0(VALU_DEP_1) | instskip(SKIP_1) | instid1(VALU_DEP_2)
	v_fma_f16 v29, v46, 2.0, -v22
	v_pack_b32_f16 v22, v22, v23
	v_pack_b32_f16 v27, v29, v27
	ds_store_2addr_b32 v45, v27, v22 offset1:240
	v_lshrrev_b32_e32 v22, 16, v48
	v_mul_f16_e64 v27, v48, v162
	s_delay_alu instid0(VALU_DEP_2) | instskip(NEXT) | instid1(VALU_DEP_2)
	v_mul_f16_e64 v23, v22, v162
	v_fmac_f16_e32 v27, v22, v64
	v_lshrrev_b32_e32 v22, 16, v51
	s_delay_alu instid0(VALU_DEP_3) | instskip(NEXT) | instid1(VALU_DEP_2)
	v_fma_f16 v23, v48, v64, -v23
	v_sub_f16_e32 v27, v22, v27
	s_delay_alu instid0(VALU_DEP_2) | instskip(NEXT) | instid1(VALU_DEP_2)
	v_sub_f16_e32 v23, v51, v23
	v_fma_f16 v22, v22, 2.0, -v27
	s_delay_alu instid0(VALU_DEP_2) | instskip(SKIP_2) | instid1(VALU_DEP_3)
	v_fma_f16 v29, v51, 2.0, -v23
	v_pack_b32_f16 v23, v23, v27
	v_add_nc_u32_e32 v27, 0x7c0, v58
	v_pack_b32_f16 v22, v29, v22
	ds_store_2addr_b32 v27, v22, v23 offset1:240
	v_lshrrev_b32_e32 v22, 16, v53
	v_mul_f16_e64 v23, v53, v161
	v_lshrrev_b32_e32 v27, 16, v52
	s_delay_alu instid0(VALU_DEP_2) | instskip(SKIP_1) | instid1(VALU_DEP_2)
	v_fmac_f16_e32 v23, v22, v72
	v_mul_f16_e64 v22, v22, v161
	v_sub_f16_e32 v21, v27, v23
	s_delay_alu instid0(VALU_DEP_2) | instskip(NEXT) | instid1(VALU_DEP_2)
	v_fma_f16 v22, v53, v72, -v22
	v_fma_f16 v23, v27, 2.0, -v21
	s_delay_alu instid0(VALU_DEP_2) | instskip(SKIP_1) | instid1(VALU_DEP_2)
	v_sub_f16_e32 v22, v52, v22
	v_mul_lo_u16 v27, 0x1e0, v47
	v_fma_f16 v29, v52, 2.0, -v22
	v_pack_b32_f16 v21, v22, v21
	v_mul_f16_e64 v22, v54, v160
	s_delay_alu instid0(VALU_DEP_3) | instskip(SKIP_2) | instid1(VALU_DEP_1)
	v_pack_b32_f16 v23, v29, v23
	ds_store_2addr_b32 v4, v23, v21 offset1:240
	v_lshrrev_b32_e32 v4, 16, v54
	v_mul_f16_e64 v21, v4, v160
	v_fmac_f16_e32 v22, v4, v68
	v_lshrrev_b32_e32 v4, 16, v55
	s_delay_alu instid0(VALU_DEP_3) | instskip(NEXT) | instid1(VALU_DEP_2)
	v_fma_f16 v21, v54, v68, -v21
	v_sub_f16_e32 v22, v4, v22
	s_delay_alu instid0(VALU_DEP_2) | instskip(NEXT) | instid1(VALU_DEP_2)
	v_sub_f16_e32 v21, v55, v21
	v_fma_f16 v4, v4, 2.0, -v22
	s_delay_alu instid0(VALU_DEP_2) | instskip(SKIP_1) | instid1(VALU_DEP_2)
	v_fma_f16 v23, v55, 2.0, -v21
	v_pack_b32_f16 v21, v21, v22
	v_pack_b32_f16 v4, v23, v4
	v_lshrrev_b32_e32 v23, 20, v32
	ds_store_2addr_b32 v0, v4, v21 offset1:240
	v_lshrrev_b32_e32 v0, 16, v59
	v_lshrrev_b32_e32 v21, 16, v56
	v_mul_lo_u16 v23, 0x1e0, v23
	s_delay_alu instid0(VALU_DEP_1) | instskip(SKIP_1) | instid1(VALU_DEP_1)
	v_sub_nc_u16 v23, v31, v23
	v_lshrrev_b32_e32 v159, 16, v67
	v_mul_f16_e64 v4, v59, v159
	s_delay_alu instid0(VALU_DEP_1) | instskip(SKIP_2) | instid1(VALU_DEP_3)
	v_fmac_f16_e32 v4, v0, v67
	v_mul_f16_e64 v0, v0, v159
	v_lshrrev_b32_e32 v157, 16, v70
	v_sub_f16_e32 v2, v21, v4
	s_delay_alu instid0(VALU_DEP_3) | instskip(NEXT) | instid1(VALU_DEP_2)
	v_fma_f16 v0, v59, v67, -v0
	v_fma_f16 v4, v21, 2.0, -v2
	s_delay_alu instid0(VALU_DEP_2) | instskip(NEXT) | instid1(VALU_DEP_1)
	v_sub_f16_e32 v0, v56, v0
	v_fma_f16 v22, v56, 2.0, -v0
	v_pack_b32_f16 v0, v0, v2
	v_mul_f16_e64 v2, v60, v158
	s_delay_alu instid0(VALU_DEP_3) | instskip(SKIP_2) | instid1(VALU_DEP_1)
	v_pack_b32_f16 v4, v22, v4
	ds_store_2addr_b32 v1, v4, v0 offset1:240
	v_lshrrev_b32_e32 v0, 16, v60
	v_mul_f16_e64 v1, v0, v158
	v_fmac_f16_e32 v2, v0, v73
	v_lshrrev_b32_e32 v0, 16, v61
	s_delay_alu instid0(VALU_DEP_3) | instskip(NEXT) | instid1(VALU_DEP_2)
	v_fma_f16 v1, v60, v73, -v1
	v_sub_f16_e32 v2, v0, v2
	s_delay_alu instid0(VALU_DEP_2) | instskip(SKIP_1) | instid1(VALU_DEP_3)
	v_sub_f16_e32 v1, v61, v1
	v_lshrrev_b32_e32 v132, 16, v69
	v_fma_f16 v0, v0, 2.0, -v2
	v_lshrrev_b32_e32 v171, 16, v76
	v_lshrrev_b32_e32 v225, 16, v77
	v_fma_f16 v4, v61, 2.0, -v1
	v_pack_b32_f16 v1, v1, v2
	v_add_nc_u32_e32 v2, 0x1680, v3
	v_lshrrev_b32_e32 v136, 16, v65
	v_lshrrev_b32_e32 v131, 16, v71
	v_pack_b32_f16 v0, v4, v0
	v_mad_u16 v4, 0x1e0, v49, v57
	scratch_store_b32 off, v2, off offset:356 ; 4-byte Folded Spill
	v_lshrrev_b32_e32 v226, 16, v78
	v_lshrrev_b32_e32 v165, 16, v79
	ds_store_2addr_b32 v2, v0, v1 offset1:240
	v_lshrrev_b32_e32 v0, 16, v80
	v_mul_f16_e64 v1, v80, v157
	v_lshrrev_b32_e32 v2, 16, v62
	v_sub_nc_u16 v49, v26, v27
	s_delay_alu instid0(VALU_DEP_3) | instskip(SKIP_1) | instid1(VALU_DEP_3)
	v_fmac_f16_e32 v1, v0, v70
	v_mul_f16_e64 v0, v0, v157
	v_and_b32_e32 v27, 0xffff, v49
	v_mad_u16 v47, 0x3c0, v47, v49
	s_delay_alu instid0(VALU_DEP_4) | instskip(NEXT) | instid1(VALU_DEP_4)
	v_sub_f16_e32 v1, v2, v1
	v_fma_f16 v0, v80, v70, -v0
	s_delay_alu instid0(VALU_DEP_4) | instskip(NEXT) | instid1(VALU_DEP_3)
	v_lshlrev_b32_e32 v27, 2, v27
	v_fma_f16 v2, v2, 2.0, -v1
	s_delay_alu instid0(VALU_DEP_3) | instskip(NEXT) | instid1(VALU_DEP_1)
	v_sub_f16_e32 v0, v62, v0
	v_fma_f16 v3, v62, 2.0, -v0
	v_pack_b32_f16 v0, v0, v1
	v_and_b32_e32 v1, 0xffff, v4
	v_mad_u16 v4, 0x1e0, v63, v66
	s_delay_alu instid0(VALU_DEP_4) | instskip(NEXT) | instid1(VALU_DEP_3)
	v_pack_b32_f16 v2, v3, v2
	v_lshlrev_b32_e32 v1, 2, v1
	ds_store_2addr_b32 v1, v2, v0 offset1:240
	v_lshrrev_b32_e32 v0, 16, v81
	scratch_store_b32 off, v1, off offset:360 ; 4-byte Folded Spill
	v_mul_f16_e64 v2, v81, v136
	v_mul_f16_e64 v1, v0, v136
	s_delay_alu instid0(VALU_DEP_2) | instskip(SKIP_1) | instid1(VALU_DEP_3)
	v_fmac_f16_e32 v2, v0, v65
	v_lshrrev_b32_e32 v0, 16, v82
	v_fma_f16 v1, v81, v65, -v1
	s_delay_alu instid0(VALU_DEP_2) | instskip(NEXT) | instid1(VALU_DEP_2)
	v_sub_f16_e32 v2, v0, v2
	v_sub_f16_e32 v1, v82, v1
	s_delay_alu instid0(VALU_DEP_2) | instskip(NEXT) | instid1(VALU_DEP_2)
	v_fma_f16 v0, v0, 2.0, -v2
	v_fma_f16 v3, v82, 2.0, -v1
	v_pack_b32_f16 v1, v1, v2
	v_add_nc_u32_e32 v2, 0x1e00, v74
	s_delay_alu instid0(VALU_DEP_3)
	v_pack_b32_f16 v0, v3, v0
	scratch_store_b32 off, v2, off offset:364 ; 4-byte Folded Spill
	ds_store_2addr_b32 v2, v0, v1 offset1:240
	v_lshrrev_b32_e32 v0, 16, v84
	v_mul_f16_e64 v1, v84, v132
	v_lshrrev_b32_e32 v2, 16, v83
	s_delay_alu instid0(VALU_DEP_2) | instskip(SKIP_1) | instid1(VALU_DEP_2)
	v_fmac_f16_e32 v1, v0, v69
	v_mul_f16_e64 v0, v0, v132
	v_sub_f16_e32 v1, v2, v1
	s_delay_alu instid0(VALU_DEP_2) | instskip(NEXT) | instid1(VALU_DEP_2)
	v_fma_f16 v0, v84, v69, -v0
	v_fma_f16 v2, v2, 2.0, -v1
	s_delay_alu instid0(VALU_DEP_2) | instskip(NEXT) | instid1(VALU_DEP_1)
	v_sub_f16_e32 v0, v83, v0
	v_fma_f16 v3, v83, 2.0, -v0
	v_pack_b32_f16 v0, v0, v1
	v_and_b32_e32 v1, 0xffff, v4
	v_mad_u16 v4, 0x1e0, v94, v95
	s_delay_alu instid0(VALU_DEP_4) | instskip(NEXT) | instid1(VALU_DEP_3)
	v_pack_b32_f16 v2, v3, v2
	v_lshlrev_b32_e32 v1, 2, v1
	ds_store_2addr_b32 v1, v2, v0 offset1:240
	v_lshrrev_b32_e32 v0, 16, v85
	scratch_store_b32 off, v1, off offset:368 ; 4-byte Folded Spill
	v_mul_f16_e64 v2, v85, v131
	v_mul_f16_e64 v1, v0, v131
	s_delay_alu instid0(VALU_DEP_2) | instskip(SKIP_1) | instid1(VALU_DEP_3)
	v_fmac_f16_e32 v2, v0, v71
	v_lshrrev_b32_e32 v0, 16, v86
	v_fma_f16 v1, v85, v71, -v1
	s_delay_alu instid0(VALU_DEP_2) | instskip(NEXT) | instid1(VALU_DEP_2)
	v_sub_f16_e32 v2, v0, v2
	v_sub_f16_e32 v1, v86, v1
	s_delay_alu instid0(VALU_DEP_2) | instskip(NEXT) | instid1(VALU_DEP_2)
	v_fma_f16 v0, v0, 2.0, -v2
	v_fma_f16 v3, v86, 2.0, -v1
	v_pack_b32_f16 v1, v1, v2
	v_add_nc_u32_e32 v2, 0x2580, v98
	scratch_store_b32 off, v45, off offset:340 ; 4-byte Folded Spill
	v_pack_b32_f16 v0, v3, v0
	scratch_store_b32 off, v2, off offset:320 ; 4-byte Folded Spill
	ds_store_2addr_b32 v2, v0, v1 offset1:240
	v_lshrrev_b32_e32 v0, 16, v88
	v_mul_f16_e64 v1, v88, v171
	v_lshrrev_b32_e32 v2, 16, v87
	s_delay_alu instid0(VALU_DEP_2) | instskip(SKIP_1) | instid1(VALU_DEP_2)
	v_fmac_f16_e32 v1, v0, v76
	v_mul_f16_e64 v0, v0, v171
	v_sub_f16_e32 v1, v2, v1
	s_delay_alu instid0(VALU_DEP_2) | instskip(NEXT) | instid1(VALU_DEP_2)
	v_fma_f16 v0, v88, v76, -v0
	v_fma_f16 v2, v2, 2.0, -v1
	s_delay_alu instid0(VALU_DEP_2) | instskip(NEXT) | instid1(VALU_DEP_1)
	v_sub_f16_e32 v0, v87, v0
	v_fma_f16 v3, v87, 2.0, -v0
	v_pack_b32_f16 v0, v0, v1
	v_and_b32_e32 v1, 0xffff, v4
	v_mad_u16 v4, 0x1e0, v96, v97
	s_delay_alu instid0(VALU_DEP_4) | instskip(NEXT) | instid1(VALU_DEP_3)
	v_pack_b32_f16 v2, v3, v2
	v_lshlrev_b32_e32 v1, 2, v1
	ds_store_2addr_b32 v1, v2, v0 offset1:240
	v_lshrrev_b32_e32 v0, 16, v89
	scratch_store_b32 off, v1, off offset:324 ; 4-byte Folded Spill
	v_mul_f16_e64 v2, v89, v225
	v_mul_f16_e64 v1, v0, v225
	s_delay_alu instid0(VALU_DEP_2) | instskip(SKIP_1) | instid1(VALU_DEP_3)
	v_fmac_f16_e32 v2, v0, v77
	v_lshrrev_b32_e32 v0, 16, v90
	v_fma_f16 v1, v89, v77, -v1
	s_delay_alu instid0(VALU_DEP_2) | instskip(NEXT) | instid1(VALU_DEP_2)
	v_sub_f16_e32 v2, v0, v2
	v_sub_f16_e32 v1, v90, v1
	s_delay_alu instid0(VALU_DEP_2) | instskip(NEXT) | instid1(VALU_DEP_2)
	v_fma_f16 v0, v0, 2.0, -v2
	v_fma_f16 v3, v90, 2.0, -v1
	v_pack_b32_f16 v1, v1, v2
	v_add_nc_u32_e32 v2, 0x2d00, v100
	s_delay_alu instid0(VALU_DEP_3)
	v_pack_b32_f16 v0, v3, v0
	scratch_store_b32 off, v2, off offset:328 ; 4-byte Folded Spill
	ds_store_2addr_b32 v2, v0, v1 offset1:240
	v_lshrrev_b32_e32 v0, 16, v92
	v_mul_f16_e64 v1, v92, v226
	v_lshrrev_b32_e32 v2, 16, v91
	s_delay_alu instid0(VALU_DEP_2) | instskip(SKIP_1) | instid1(VALU_DEP_2)
	v_fmac_f16_e32 v1, v0, v78
	v_mul_f16_e64 v0, v0, v226
	v_sub_f16_e32 v1, v2, v1
	s_delay_alu instid0(VALU_DEP_2) | instskip(NEXT) | instid1(VALU_DEP_2)
	v_fma_f16 v0, v92, v78, -v0
	v_fma_f16 v2, v2, 2.0, -v1
	s_delay_alu instid0(VALU_DEP_2) | instskip(NEXT) | instid1(VALU_DEP_1)
	v_sub_f16_e32 v0, v91, v0
	v_fma_f16 v3, v91, 2.0, -v0
	v_pack_b32_f16 v0, v0, v1
	v_and_b32_e32 v1, 0xffff, v4
	s_delay_alu instid0(VALU_DEP_3) | instskip(NEXT) | instid1(VALU_DEP_2)
	v_pack_b32_f16 v2, v3, v2
	v_lshlrev_b32_e32 v1, 2, v1
	ds_store_2addr_b32 v1, v2, v0 offset1:240
	v_lshrrev_b32_e32 v0, 16, v93
	scratch_store_b32 off, v1, off offset:332 ; 4-byte Folded Spill
	v_mul_f16_e64 v2, v93, v165
	v_mul_f16_e64 v1, v0, v165
	s_delay_alu instid0(VALU_DEP_2) | instskip(NEXT) | instid1(VALU_DEP_2)
	v_fmac_f16_e32 v2, v0, v79
	v_fma_f16 v1, v93, v79, -v1
	s_delay_alu instid0(VALU_DEP_1) | instskip(SKIP_1) | instid1(VALU_DEP_2)
	v_sub_f16_e32 v0, v28, v1
	v_lshrrev_b32_e32 v1, 16, v28
	v_fma_f16 v3, v28, 2.0, -v0
	s_delay_alu instid0(VALU_DEP_2) | instskip(NEXT) | instid1(VALU_DEP_1)
	v_sub_f16_e32 v2, v1, v2
	v_fma_f16 v1, v1, 2.0, -v2
	v_pack_b32_f16 v0, v0, v2
	v_add_nc_u32_e32 v2, 0x3480, v99
	s_delay_alu instid0(VALU_DEP_3)
	v_pack_b32_f16 v1, v3, v1
	scratch_store_b32 off, v2, off offset:336 ; 4-byte Folded Spill
	ds_store_2addr_b32 v2, v1, v0 offset1:240
	v_add_co_u32 v0, s2, 0xffffffa0, v228
	s_wait_alu 0xf1ff
	v_add_co_ci_u32_e64 v1, null, 0, -1, s2
	global_wb scope:SCOPE_SE
	s_wait_storecnt_dscnt 0x0
	s_wait_alu 0xfffd
	v_cndmask_b32_e32 v28, v0, v24, vcc_lo
	s_barrier_signal -1
	v_cndmask_b32_e64 v29, v1, 0, vcc_lo
	s_barrier_wait -1
	global_inv scope:SCOPE_SE
	v_lshrrev_b32_e32 v0, 20, v44
	v_lshlrev_b64_e32 v[21:22], 2, v[28:29]
	s_delay_alu instid0(VALU_DEP_2) | instskip(NEXT) | instid1(VALU_DEP_2)
	v_mul_lo_u16 v0, 0x1e0, v0
	v_add_co_u32 v45, vcc_lo, s6, v21
	s_wait_alu 0xfffd
	s_delay_alu instid0(VALU_DEP_3) | instskip(NEXT) | instid1(VALU_DEP_3)
	v_add_co_ci_u32_e32 v46, vcc_lo, s7, v22, vcc_lo
	v_sub_nc_u16 v1, v43, v0
	v_lshrrev_b32_e32 v0, 20, v42
	v_lshrrev_b32_e32 v21, 20, v35
	s_clause 0x6
	global_load_b32 v74, v[45:46], off offset:1880
	global_load_b32 v66, v27, s[6:7] offset:1880
	global_load_b32 v48, v58, s[6:7] offset:1880
	;; [unrolled: 1-line block ×6, first 2 shown]
	v_mul_lo_u16 v0, 0x1e0, v0
	ds_load_2addr_stride64_b32 v[29:30], v58 offset0:28 offset1:30
	ds_load_2addr_stride64_b32 v[31:32], v58 offset0:32 offset1:34
	v_mul_lo_u16 v21, 0x1e0, v21
	v_and_b32_e32 v1, 0xffff, v1
	v_sub_nc_u16 v2, v41, v0
	v_lshrrev_b32_e32 v0, 20, v39
	v_cmp_lt_u64_e32 vcc_lo, 0x1df, v[24:25]
	v_sub_nc_u16 v21, v33, v21
	v_lshlrev_b32_e32 v86, 2, v1
	v_and_b32_e32 v2, 0xffff, v2
	v_mul_lo_u16 v0, 0x1e0, v0
	s_delay_alu instid0(VALU_DEP_2) | instskip(NEXT) | instid1(VALU_DEP_2)
	v_lshlrev_b32_e32 v88, 2, v2
	v_sub_nc_u16 v3, v37, v0
	v_lshrrev_b32_e32 v0, 20, v40
	s_wait_dscnt 0x1
	v_lshrrev_b32_e32 v27, 16, v30
	s_delay_alu instid0(VALU_DEP_2) | instskip(SKIP_1) | instid1(VALU_DEP_2)
	v_mul_lo_u16 v4, 0x1e0, v0
	v_and_b32_e32 v1, 0xffff, v3
	v_sub_nc_u16 v22, v38, v4
	v_lshrrev_b32_e32 v4, 20, v36
	s_delay_alu instid0(VALU_DEP_3)
	v_lshlrev_b32_e32 v87, 2, v1
	s_wait_dscnt 0x0
	v_lshrrev_b32_e32 v1, 16, v32
	v_and_b32_e32 v2, 0xffff, v22
	v_mul_lo_u16 v4, 0x1e0, v4
	v_mad_u16 v0, 0x3c0, v0, v22
	s_delay_alu instid0(VALU_DEP_3) | instskip(NEXT) | instid1(VALU_DEP_3)
	v_lshlrev_b32_e32 v2, 2, v2
	v_sub_nc_u16 v4, v34, v4
	v_lshrrev_b32_e32 v34, 16, v31
	s_delay_alu instid0(VALU_DEP_4)
	v_and_b32_e32 v0, 0xffff, v0
	global_load_b32 v60, v2, s[6:7] offset:1880
	v_and_b32_e32 v3, 0xffff, v4
	v_and_b32_e32 v4, 0xffff, v21
	;; [unrolled: 1-line block ×3, first 2 shown]
	v_lshlrev_b32_e32 v110, 2, v0
	s_delay_alu instid0(VALU_DEP_4) | instskip(NEXT) | instid1(VALU_DEP_4)
	v_lshlrev_b32_e32 v89, 2, v3
	v_lshlrev_b32_e32 v90, 2, v4
	s_delay_alu instid0(VALU_DEP_4)
	v_lshlrev_b32_e32 v91, 2, v21
	s_wait_loadcnt 0x6
	v_lshrrev_b32_e32 v115, 16, v66
	s_wait_loadcnt 0x5
	v_lshrrev_b32_e32 v120, 16, v48
	;; [unrolled: 2-line block ×3, first 2 shown]
	v_lshrrev_b32_e32 v126, 16, v74
	s_wait_loadcnt 0x3
	v_lshrrev_b32_e32 v129, 16, v55
	s_wait_loadcnt 0x1
	v_lshrrev_b32_e32 v170, 16, v52
	v_mul_f16_e32 v33, v30, v120
	v_lshrrev_b32_e32 v127, 16, v53
	s_delay_alu instid0(VALU_DEP_3) | instskip(NEXT) | instid1(VALU_DEP_3)
	v_mul_f16_e64 v35, v31, v170
	v_fmac_f16_e32 v33, v27, v48
	v_mul_f16_e32 v27, v27, v120
	s_delay_alu instid0(VALU_DEP_3) | instskip(SKIP_1) | instid1(VALU_DEP_3)
	v_fmac_f16_e32 v35, v34, v52
	v_mul_f16_e64 v34, v34, v170
	v_fma_f16 v27, v30, v48, -v27
	s_delay_alu instid0(VALU_DEP_2)
	v_fma_f16 v34, v31, v52, -v34
	ds_load_2addr_stride64_b32 v[30:31], v58 offset1:2
	s_clause 0x6
	global_load_b32 v21, v58, s[6:7] offset:2904
	global_load_b32 v54, v86, s[6:7] offset:1880
	;; [unrolled: 1-line block ×7, first 2 shown]
	s_wait_dscnt 0x0
	v_sub_f16_e32 v51, v31, v34
	v_lshrrev_b32_e32 v34, 16, v30
	v_sub_f16_e32 v27, v30, v27
	v_lshrrev_b32_e32 v36, 16, v31
	s_delay_alu instid0(VALU_DEP_4) | instskip(NEXT) | instid1(VALU_DEP_4)
	v_fma_f16 v31, v31, 2.0, -v51
	v_sub_f16_e32 v95, v34, v33
	s_delay_alu instid0(VALU_DEP_4) | instskip(NEXT) | instid1(VALU_DEP_4)
	v_fma_f16 v30, v30, 2.0, -v27
	v_sub_f16_e32 v96, v36, v35
	s_wait_loadcnt 0x7
	v_lshrrev_b32_e32 v101, 16, v60
	v_fma_f16 v33, v34, 2.0, -v95
	s_delay_alu instid0(VALU_DEP_1) | instskip(SKIP_1) | instid1(VALU_DEP_1)
	v_pack_b32_f16 v92, v30, v33
	v_fma_f16 v30, v36, 2.0, -v96
	v_pack_b32_f16 v97, v31, v30
	ds_load_2addr_stride64_b32 v[30:31], v58 offset0:4 offset1:6
	ds_load_2addr_stride64_b32 v[33:34], v58 offset0:36 offset1:38
	;; [unrolled: 1-line block ×12, first 2 shown]
	global_wb scope:SCOPE_SE
	s_wait_loadcnt_dscnt 0x0
	s_barrier_signal -1
	s_barrier_wait -1
	global_inv scope:SCOPE_SE
	ds_store_2addr_stride64_b32 v58, v92, v97 offset1:2
	v_lshrrev_b32_e32 v4, 16, v30
	v_mul_f16_e32 v24, v34, v127
	v_lshrrev_b32_e32 v92, 16, v21
	v_lshrrev_b32_e32 v119, 16, v54
	;; [unrolled: 1-line block ×5, first 2 shown]
	v_mul_f16_e32 v2, v1, v92
	v_mul_f16_e32 v3, v32, v92
	v_lshrrev_b32_e32 v100, 16, v56
	v_lshrrev_b32_e32 v108, 16, v62
	s_delay_alu instid0(VALU_DEP_4) | instskip(NEXT) | instid1(VALU_DEP_4)
	v_fma_f16 v2, v32, v21, -v2
	v_fmac_f16_e32 v3, v1, v21
	v_pack_b32_f16 v1, v27, v95
	v_mov_b32_e32 v27, v25
	v_lshrrev_b32_e32 v25, 16, v37
	v_sub_f16_e32 v2, v30, v2
	v_sub_f16_e32 v3, v4, v3
	s_delay_alu instid0(VALU_DEP_2) | instskip(NEXT) | instid1(VALU_DEP_2)
	v_fma_f16 v23, v30, 2.0, -v2
	v_fma_f16 v4, v4, 2.0, -v3
	v_pack_b32_f16 v2, v2, v3
	v_lshrrev_b32_e32 v3, 16, v34
	v_lshrrev_b32_e32 v30, 16, v35
	s_delay_alu instid0(VALU_DEP_4) | instskip(SKIP_1) | instid1(VALU_DEP_4)
	v_pack_b32_f16 v4, v23, v4
	v_add_nc_u32_e32 v23, 0x400, v58
	v_fmac_f16_e32 v24, v3, v53
	ds_store_2addr_b32 v23, v4, v1 offset1:224
	v_pack_b32_f16 v1, v51, v96
	v_mul_f16_e32 v23, v33, v126
	v_mul_f16_e32 v4, v3, v127
	;; [unrolled: 1-line block ×3, first 2 shown]
	ds_store_2addr_stride64_b32 v163, v1, v2 offset0:9 offset1:11
	s_wait_alu 0xfffd
	v_cndmask_b32_e64 v1, 0, 0x3c0, vcc_lo
	v_fma_f16 v4, v34, v53, -v4
	v_cmp_gt_u64_e32 vcc_lo, 0x3c0, v[26:27]
	v_lshrrev_b32_e32 v34, 16, v82
	s_delay_alu instid0(VALU_DEP_4) | instskip(SKIP_3) | instid1(VALU_DEP_3)
	v_add_lshl_u32 v130, v1, v28, 2
	v_lshrrev_b32_e32 v1, 16, v33
	v_mul_f16_e64 v28, v37, v129
	v_sub_f16_e32 v4, v35, v4
	v_mul_f16_e32 v2, v1, v126
	v_fmac_f16_e32 v23, v1, v74
	s_delay_alu instid0(VALU_DEP_4) | instskip(SKIP_4) | instid1(VALU_DEP_4)
	v_fmac_f16_e32 v28, v25, v55
	v_mul_f16_e64 v25, v25, v129
	v_fma_f16 v32, v35, 2.0, -v4
	v_fma_f16 v2, v33, v74, -v2
	v_mul_f16_e32 v35, v34, v101
	v_fma_f16 v25, v37, v55, -v25
	s_delay_alu instid0(VALU_DEP_3) | instskip(SKIP_1) | instid1(VALU_DEP_4)
	v_sub_f16_e32 v1, v31, v2
	v_lshrrev_b32_e32 v2, 16, v31
	v_fma_f16 v35, v82, v60, -v35
	s_delay_alu instid0(VALU_DEP_4) | instskip(NEXT) | instid1(VALU_DEP_4)
	v_sub_f16_e32 v25, v36, v25
	v_fma_f16 v3, v31, 2.0, -v1
	s_delay_alu instid0(VALU_DEP_4) | instskip(SKIP_1) | instid1(VALU_DEP_4)
	v_sub_f16_e32 v23, v2, v23
	v_lshrrev_b32_e32 v31, 16, v36
	v_fma_f16 v33, v36, 2.0, -v25
	v_lshrrev_b32_e32 v36, 16, v83
	v_sub_f16_e32 v35, v81, v35
	v_fma_f16 v2, v2, 2.0, -v23
	v_pack_b32_f16 v1, v1, v23
	s_delay_alu instid0(VALU_DEP_4) | instskip(NEXT) | instid1(VALU_DEP_3)
	v_mul_f16_e32 v37, v36, v104
	v_pack_b32_f16 v2, v3, v2
	v_sub_f16_e32 v3, v30, v24
	v_sub_f16_e32 v24, v31, v28
	s_delay_alu instid0(VALU_DEP_4) | instskip(NEXT) | instid1(VALU_DEP_3)
	v_fma_f16 v37, v83, v59, -v37
	v_fma_f16 v23, v30, 2.0, -v3
	s_delay_alu instid0(VALU_DEP_3)
	v_fma_f16 v28, v31, 2.0, -v24
	v_mul_f16_e32 v30, v42, v119
	v_lshrrev_b32_e32 v31, 16, v46
	v_sub_f16_e32 v37, v84, v37
	v_pack_b32_f16 v23, v32, v23
	v_pack_b32_f16 v28, v33, v28
	ds_store_b32 v130, v2
	ds_store_b32 v130, v1 offset:1920
	ds_store_2addr_stride64_b32 v163, v23, v28 offset0:15 offset1:17
	v_lshrrev_b32_e32 v1, 16, v38
	v_mul_f16_e64 v23, v38, v128
	v_mul_f16_e32 v28, v41, v115
	v_mul_f16_e32 v33, v46, v100
	;; [unrolled: 1-line block ×3, first 2 shown]
	v_mul_f16_e64 v2, v1, v128
	v_fmac_f16_e32 v23, v1, v63
	v_pack_b32_f16 v1, v4, v3
	v_lshrrev_b32_e32 v3, 16, v39
	v_fmac_f16_e32 v33, v31, v56
	v_fma_f16 v2, v38, v63, -v2
	v_lshrrev_b32_e32 v31, 16, v40
	v_mul_f16_e32 v38, v82, v101
	v_sub_f16_e32 v4, v3, v23
	v_fma_f16 v32, v46, v56, -v32
	v_sub_f16_e32 v2, v39, v2
	v_mul_f16_e32 v82, v94, v108
	v_fmac_f16_e32 v38, v34, v60
	v_fma_f16 v3, v3, 2.0, -v4
	v_sub_f16_e32 v32, v80, v32
	v_fma_f16 v23, v39, 2.0, -v2
	v_pack_b32_f16 v2, v2, v4
	v_mul_f16_e32 v39, v83, v104
	v_lshrrev_b32_e32 v83, 16, v84
	v_fma_f16 v84, v84, 2.0, -v37
	v_pack_b32_f16 v3, v23, v3
	v_add_nc_u32_e32 v23, 0x1380, v58
	v_fmac_f16_e32 v39, v36, v59
	v_lshrrev_b32_e32 v36, 16, v43
	ds_store_2addr_b32 v23, v3, v1 offset1:224
	v_pack_b32_f16 v1, v25, v24
	v_lshrrev_b32_e32 v3, 16, v42
	v_sub_f16_e32 v0, v83, v39
	ds_store_2addr_stride64_b32 v58, v1, v2 offset0:25 offset1:27
	v_add_co_u32 v1, s2, 0xffffffc0, v228
	s_wait_alu 0xf1ff
	v_add_co_ci_u32_e64 v2, null, 0, -1, s2
	v_mul_f16_e32 v4, v3, v119
	s_wait_alu 0xfffd
	v_cndmask_b32_e32 v23, v1, v26, vcc_lo
	v_lshrrev_b32_e32 v1, 16, v41
	v_cndmask_b32_e64 v24, v2, 0, vcc_lo
	v_fmac_f16_e32 v30, v3, v54
	v_mul_f16_e32 v3, v45, v114
	v_fma_f16 v4, v42, v54, -v4
	v_mul_f16_e32 v2, v1, v115
	v_fmac_f16_e32 v28, v1, v66
	v_lshrrev_b32_e32 v1, 16, v45
	v_lshlrev_b64_e32 v[24:25], 2, v[23:24]
	v_sub_f16_e32 v4, v43, v4
	v_fma_f16 v2, v41, v66, -v2
	v_sub_f16_e32 v28, v31, v28
	v_fmac_f16_e32 v3, v1, v57
	v_mul_f16_e32 v1, v1, v114
	v_lshrrev_b32_e32 v41, 16, v93
	v_sub_f16_e32 v2, v40, v2
	v_fma_f16 v31, v31, 2.0, -v28
	v_add_co_u32 v24, vcc_lo, s6, v24
	v_fma_f16 v1, v45, v57, -v1
	s_delay_alu instid0(VALU_DEP_4)
	v_fma_f16 v34, v40, 2.0, -v2
	v_pack_b32_f16 v2, v2, v28
	v_and_b32_e32 v28, 0xffff, v47
	v_lshrrev_b32_e32 v40, 16, v44
	v_sub_f16_e32 v1, v44, v1
	v_pack_b32_f16 v31, v34, v31
	v_mul_f16_e32 v42, v41, v102
	v_lshlrev_b32_e32 v99, 2, v28
	v_fmac_f16_e32 v51, v41, v61
	v_fma_f16 v41, v43, 2.0, -v4
	v_fma_f16 v43, v44, 2.0, -v1
	v_lshrrev_b32_e32 v44, 16, v80
	ds_store_b32 v99, v31
	ds_store_b32 v99, v2 offset:1920
	v_sub_f16_e32 v2, v36, v30
	v_sub_f16_e32 v3, v40, v3
	v_lshrrev_b32_e32 v45, 16, v94
	v_fma_f16 v80, v80, 2.0, -v32
	v_fma_f16 v42, v93, v61, -v42
	v_fma_f16 v28, v36, 2.0, -v2
	v_pack_b32_f16 v2, v4, v2
	v_fma_f16 v4, v40, 2.0, -v3
	v_pack_b32_f16 v1, v1, v3
	v_sub_f16_e32 v3, v44, v33
	v_mul_f16_e32 v46, v45, v108
	v_fmac_f16_e32 v82, v45, v62
	v_lshrrev_b32_e32 v45, 16, v81
	v_pack_b32_f16 v28, v41, v28
	v_fma_f16 v30, v44, 2.0, -v3
	v_pack_b32_f16 v4, v43, v4
	v_pack_b32_f16 v3, v32, v3
	v_fma_f16 v81, v81, 2.0, -v35
	v_lshrrev_b32_e32 v93, 16, v85
	v_pack_b32_f16 v30, v80, v30
	ds_store_b32 v86, v28 offset:7680
	ds_store_b32 v86, v2 offset:9600
	;; [unrolled: 1-line block ×6, first 2 shown]
	v_sub_f16_e32 v1, v45, v38
	v_fma_f16 v46, v94, v62, -v46
	v_lshrrev_b32_e32 v94, 16, v29
	v_sub_f16_e32 v42, v85, v42
	s_wait_alu 0xfffd
	v_add_co_ci_u32_e32 v25, vcc_lo, s7, v25, vcc_lo
	v_fma_f16 v2, v45, 2.0, -v1
	v_pack_b32_f16 v1, v35, v1
	v_sub_f16_e32 v46, v29, v46
	v_sub_f16_e32 v4, v94, v82
	v_fma_f16 v85, v85, 2.0, -v42
	v_pack_b32_f16 v2, v81, v2
	ds_store_b32 v110, v2
	ds_store_b32 v110, v1 offset:1920
	v_sub_f16_e32 v2, v93, v51
	v_fma_f16 v1, v83, 2.0, -v0
	v_fma_f16 v29, v29, 2.0, -v46
	;; [unrolled: 1-line block ×3, first 2 shown]
	v_pack_b32_f16 v0, v37, v0
	v_fma_f16 v3, v93, 2.0, -v2
	v_pack_b32_f16 v1, v84, v1
	v_pack_b32_f16 v2, v42, v2
	;; [unrolled: 1-line block ×5, first 2 shown]
	ds_store_b32 v89, v1 offset:11520
	ds_store_b32 v89, v0 offset:13440
	;; [unrolled: 1-line block ×6, first 2 shown]
	global_wb scope:SCOPE_SE
	s_wait_dscnt 0x0
	s_barrier_signal -1
	s_barrier_wait -1
	global_inv scope:SCOPE_SE
	s_clause 0x5
	global_load_b32 v49, v58, s[6:7] offset:3800
	global_load_b32 v138, v58, s[6:7] offset:5592
	;; [unrolled: 1-line block ×6, first 2 shown]
	ds_load_2addr_stride64_b32 v[28:29], v58 offset0:28 offset1:30
	ds_load_2addr_stride64_b32 v[30:31], v58 offset0:32 offset1:34
	v_cmp_lt_u64_e32 vcc_lo, 0x3bf, v[26:27]
	s_add_nc_u64 s[2:3], s[4:5], 0x3c00
	s_wait_dscnt 0x1
	v_lshrrev_b32_e32 v0, 16, v29
	s_wait_dscnt 0x0
	v_lshrrev_b32_e32 v2, 16, v30
	s_wait_loadcnt 0x5
	v_lshrrev_b32_e32 v111, 16, v49
	s_wait_loadcnt 0x0
	v_lshrrev_b32_e32 v98, 16, v43
	s_delay_alu instid0(VALU_DEP_2) | instskip(NEXT) | instid1(VALU_DEP_2)
	v_mul_f16_e32 v1, v29, v111
	v_mul_f16_e32 v3, v30, v98
	s_delay_alu instid0(VALU_DEP_2) | instskip(SKIP_1) | instid1(VALU_DEP_3)
	v_fmac_f16_e32 v1, v0, v49
	v_mul_f16_e32 v0, v0, v111
	v_fmac_f16_e32 v3, v2, v43
	v_mul_f16_e32 v2, v2, v98
	s_delay_alu instid0(VALU_DEP_3) | instskip(NEXT) | instid1(VALU_DEP_2)
	v_fma_f16 v0, v29, v49, -v0
	v_fma_f16 v2, v30, v43, -v2
	ds_load_2addr_stride64_b32 v[29:30], v58 offset1:2
	s_clause 0x8
	global_load_b32 v51, v[24:25], off offset:3800
	global_load_b32 v42, v58, s[6:7] offset:4824
	global_load_b32 v44, v58, s[6:7] offset:5336
	;; [unrolled: 1-line block ×8, first 2 shown]
	s_wait_dscnt 0x0
	v_lshrrev_b32_e32 v4, 16, v29
	v_lshrrev_b32_e32 v22, 16, v30
	v_sub_f16_e32 v0, v29, v0
	v_sub_f16_e32 v2, v30, v2
	s_delay_alu instid0(VALU_DEP_4) | instskip(NEXT) | instid1(VALU_DEP_4)
	v_sub_f16_e32 v1, v4, v1
	v_sub_f16_e32 v3, v22, v3
	s_delay_alu instid0(VALU_DEP_4) | instskip(NEXT) | instid1(VALU_DEP_4)
	v_fma_f16 v29, v29, 2.0, -v0
	v_fma_f16 v30, v30, 2.0, -v2
	s_delay_alu instid0(VALU_DEP_4) | instskip(NEXT) | instid1(VALU_DEP_4)
	v_fma_f16 v4, v4, 2.0, -v1
	v_fma_f16 v22, v22, 2.0, -v3
	v_pack_b32_f16 v2, v2, v3
	v_pack_b32_f16 v0, v0, v1
	s_delay_alu instid0(VALU_DEP_4) | instskip(NEXT) | instid1(VALU_DEP_4)
	v_pack_b32_f16 v4, v29, v4
	v_pack_b32_f16 v22, v30, v22
	ds_load_2addr_stride64_b32 v[24:25], v58 offset0:4 offset1:6
	ds_load_2addr_stride64_b32 v[29:30], v58 offset0:36 offset1:38
	;; [unrolled: 1-line block ×12, first 2 shown]
	global_wb scope:SCOPE_SE
	s_wait_loadcnt_dscnt 0x0
	s_barrier_signal -1
	s_barrier_wait -1
	global_inv scope:SCOPE_SE
	ds_store_2addr_stride64_b32 v58, v4, v22 offset1:2
	v_lshrrev_b32_e32 v4, 16, v31
	v_lshrrev_b32_e32 v1, 16, v36
	;; [unrolled: 1-line block ×8, first 2 shown]
	v_mul_f16_e32 v22, v4, v96
	s_delay_alu instid0(VALU_DEP_1) | instskip(SKIP_1) | instid1(VALU_DEP_2)
	v_fma_f16 v22, v31, v42, -v22
	v_mul_f16_e32 v31, v31, v96
	v_sub_f16_e32 v3, v24, v22
	s_delay_alu instid0(VALU_DEP_2) | instskip(SKIP_1) | instid1(VALU_DEP_1)
	v_fmac_f16_e32 v31, v4, v42
	v_lshrrev_b32_e32 v4, 16, v24
	v_sub_f16_e32 v22, v4, v31
	s_delay_alu instid0(VALU_DEP_1)
	v_pack_b32_f16 v31, v3, v22
	v_fma_f16 v3, v24, 2.0, -v3
	v_lshrrev_b32_e32 v24, 16, v25
	ds_store_2addr_stride64_b32 v58, v2, v31 offset0:17 offset1:19
	v_fma_f16 v2, v4, 2.0, -v22
	v_lshrrev_b32_e32 v4, 16, v29
	v_mul_f16_e32 v22, v29, v97
	s_delay_alu instid0(VALU_DEP_3) | instskip(NEXT) | instid1(VALU_DEP_2)
	v_pack_b32_f16 v2, v3, v2
	v_fmac_f16_e32 v22, v4, v44
	v_mul_f16_e32 v4, v4, v97
	s_delay_alu instid0(VALU_DEP_2) | instskip(NEXT) | instid1(VALU_DEP_2)
	v_sub_f16_e32 v3, v24, v22
	v_fma_f16 v4, v29, v44, -v4
	s_delay_alu instid0(VALU_DEP_2) | instskip(NEXT) | instid1(VALU_DEP_2)
	v_fma_f16 v22, v24, 2.0, -v3
	v_sub_f16_e32 v4, v25, v4
	v_mul_f16_e32 v24, v30, v95
	s_delay_alu instid0(VALU_DEP_2) | instskip(NEXT) | instid1(VALU_DEP_1)
	v_fma_f16 v25, v25, 2.0, -v4
	v_pack_b32_f16 v22, v25, v22
	ds_store_2addr_stride64_b32 v58, v2, v22 offset0:4 offset1:6
	v_lshrrev_b32_e32 v2, 16, v30
	s_delay_alu instid0(VALU_DEP_1) | instskip(SKIP_3) | instid1(VALU_DEP_4)
	v_mul_f16_e32 v22, v2, v95
	v_fmac_f16_e32 v24, v2, v45
	v_pack_b32_f16 v2, v4, v3
	v_lshrrev_b32_e32 v4, 16, v32
	v_fma_f16 v22, v30, v45, -v22
	s_delay_alu instid0(VALU_DEP_1) | instskip(NEXT) | instid1(VALU_DEP_3)
	v_sub_f16_e32 v3, v32, v22
	v_sub_f16_e32 v22, v4, v24
	s_delay_alu instid0(VALU_DEP_1)
	v_pack_b32_f16 v24, v3, v22
	v_fma_f16 v3, v32, 2.0, -v3
	ds_store_2addr_stride64_b32 v58, v2, v24 offset0:21 offset1:23
	v_fma_f16 v2, v4, 2.0, -v22
	v_lshrrev_b32_e32 v4, 16, v34
	v_mul_f16_e32 v22, v34, v94
	v_lshrrev_b32_e32 v24, 16, v33
	s_delay_alu instid0(VALU_DEP_4) | instskip(NEXT) | instid1(VALU_DEP_3)
	v_pack_b32_f16 v2, v3, v2
	v_fmac_f16_e32 v22, v4, v46
	v_mul_f16_e32 v4, v4, v94
	s_delay_alu instid0(VALU_DEP_2) | instskip(NEXT) | instid1(VALU_DEP_2)
	v_sub_f16_e32 v3, v24, v22
	v_fma_f16 v4, v34, v46, -v4
	s_delay_alu instid0(VALU_DEP_2) | instskip(NEXT) | instid1(VALU_DEP_2)
	v_fma_f16 v22, v24, 2.0, -v3
	v_sub_f16_e32 v4, v33, v4
	v_mul_f16_e32 v24, v35, v93
	s_delay_alu instid0(VALU_DEP_2) | instskip(NEXT) | instid1(VALU_DEP_1)
	v_fma_f16 v25, v33, 2.0, -v4
	v_pack_b32_f16 v22, v25, v22
	ds_store_2addr_stride64_b32 v58, v2, v22 offset0:8 offset1:10
	v_lshrrev_b32_e32 v2, 16, v35
	s_delay_alu instid0(VALU_DEP_1) | instskip(SKIP_1) | instid1(VALU_DEP_2)
	v_mul_f16_e32 v22, v2, v93
	v_fmac_f16_e32 v24, v2, v47
	v_fma_f16 v22, v35, v47, -v22
	s_delay_alu instid0(VALU_DEP_2) | instskip(NEXT) | instid1(VALU_DEP_2)
	v_sub_f16_e32 v2, v1, v24
	v_sub_f16_e32 v22, v36, v22
	s_delay_alu instid0(VALU_DEP_2) | instskip(NEXT) | instid1(VALU_DEP_2)
	v_fma_f16 v1, v1, 2.0, -v2
	v_fma_f16 v24, v36, 2.0, -v22
	s_delay_alu instid0(VALU_DEP_1)
	v_pack_b32_f16 v1, v24, v1
	ds_store_2addr_stride64_b32 v58, v1, v0 offset0:12 offset1:15
	v_pack_b32_f16 v0, v4, v3
	v_pack_b32_f16 v1, v22, v2
	v_lshrrev_b32_e32 v2, 16, v37
	v_lshrrev_b32_e32 v22, 16, v41
	ds_store_2addr_stride64_b32 v58, v0, v1 offset0:25 offset1:27
	s_wait_alu 0xfffd
	v_cndmask_b32_e64 v0, 0, 0x780, vcc_lo
	v_mul_f16_e32 v1, v38, v121
	s_delay_alu instid0(VALU_DEP_2) | instskip(SKIP_4) | instid1(VALU_DEP_2)
	v_add_lshl_u32 v4, v0, v23, 2
	v_lshrrev_b32_e32 v0, 16, v38
	scratch_store_b32 off, v4, off offset:372 ; 4-byte Folded Spill
	v_fmac_f16_e32 v1, v0, v51
	v_mul_f16_e32 v0, v0, v121
	v_sub_f16_e32 v1, v2, v1
	s_delay_alu instid0(VALU_DEP_2) | instskip(NEXT) | instid1(VALU_DEP_2)
	v_fma_f16 v0, v38, v51, -v0
	v_fma_f16 v2, v2, 2.0, -v1
	s_delay_alu instid0(VALU_DEP_2) | instskip(NEXT) | instid1(VALU_DEP_1)
	v_sub_f16_e32 v0, v37, v0
	v_fma_f16 v3, v37, 2.0, -v0
	v_pack_b32_f16 v0, v0, v1
	s_delay_alu instid0(VALU_DEP_2) | instskip(SKIP_4) | instid1(VALU_DEP_2)
	v_pack_b32_f16 v2, v3, v2
	ds_store_2addr_stride64_b32 v4, v2, v0 offset1:15
	v_lshrrev_b32_e32 v0, 16, v39
	v_lshrrev_b32_e32 v2, 16, v144
	;; [unrolled: 1-line block ×3, first 2 shown]
	v_mul_f16_e32 v1, v0, v2
	v_mul_f16_e32 v2, v39, v2
	s_delay_alu instid0(VALU_DEP_3) | instskip(NEXT) | instid1(VALU_DEP_3)
	v_mul_f16_e32 v3, v80, v4
	v_fma_f16 v1, v39, v144, -v1
	s_delay_alu instid0(VALU_DEP_3) | instskip(SKIP_1) | instid1(VALU_DEP_3)
	v_fmac_f16_e64 v2, v0, v144
	v_lshrrev_b32_e32 v0, 16, v80
	v_sub_f16_e32 v1, v40, v1
	s_delay_alu instid0(VALU_DEP_2) | instskip(SKIP_2) | instid1(VALU_DEP_4)
	v_fmac_f16_e64 v3, v0, v142
	v_mul_f16_e32 v0, v0, v4
	v_lshrrev_b32_e32 v4, 16, v40
	v_fma_f16 v23, v40, 2.0, -v1
	s_delay_alu instid0(VALU_DEP_4) | instskip(NEXT) | instid1(VALU_DEP_4)
	v_sub_f16_e32 v3, v22, v3
	v_fma_f16 v0, v80, v142, -v0
	s_delay_alu instid0(VALU_DEP_4) | instskip(NEXT) | instid1(VALU_DEP_3)
	v_sub_f16_e32 v2, v4, v2
	v_fma_f16 v22, v22, 2.0, -v3
	s_delay_alu instid0(VALU_DEP_3) | instskip(NEXT) | instid1(VALU_DEP_3)
	v_sub_f16_e32 v0, v41, v0
	v_fma_f16 v4, v4, 2.0, -v2
	v_pack_b32_f16 v1, v1, v2
	s_delay_alu instid0(VALU_DEP_3) | instskip(NEXT) | instid1(VALU_DEP_3)
	v_fma_f16 v24, v41, 2.0, -v0
	v_pack_b32_f16 v4, v23, v4
	v_lshrrev_b32_e32 v23, 16, v140
	v_pack_b32_f16 v0, v0, v3
	s_delay_alu instid0(VALU_DEP_4) | instskip(SKIP_2) | instid1(VALU_DEP_1)
	v_pack_b32_f16 v22, v24, v22
	ds_store_2addr_stride64_b32 v58, v4, v22 offset0:31 offset1:33
	v_lshrrev_b32_e32 v4, 16, v81
	v_mul_f16_e32 v22, v4, v23
	v_mul_f16_e32 v23, v81, v23
	s_delay_alu instid0(VALU_DEP_2) | instskip(NEXT) | instid1(VALU_DEP_2)
	v_fma_f16 v22, v81, v140, -v22
	v_fmac_f16_e64 v23, v4, v140
	v_lshrrev_b32_e32 v4, 16, v82
	s_delay_alu instid0(VALU_DEP_3) | instskip(NEXT) | instid1(VALU_DEP_2)
	v_sub_f16_e32 v3, v82, v22
	v_sub_f16_e32 v22, v4, v23
	s_delay_alu instid0(VALU_DEP_1)
	v_pack_b32_f16 v23, v3, v22
	v_fma_f16 v3, v82, 2.0, -v3
	ds_store_2addr_stride64_b32 v58, v0, v23 offset0:48 offset1:50
	v_lshrrev_b32_e32 v23, 16, v138
	v_fma_f16 v0, v4, 2.0, -v22
	v_lshrrev_b32_e32 v4, 16, v84
	s_delay_alu instid0(VALU_DEP_3) | instskip(NEXT) | instid1(VALU_DEP_3)
	v_mul_f16_e32 v22, v84, v23
	v_pack_b32_f16 v0, v3, v0
	s_delay_alu instid0(VALU_DEP_2) | instskip(SKIP_2) | instid1(VALU_DEP_2)
	v_fmac_f16_e64 v22, v4, v138
	v_mul_f16_e32 v4, v4, v23
	v_lshrrev_b32_e32 v23, 16, v83
	v_fma_f16 v4, v84, v138, -v4
	s_delay_alu instid0(VALU_DEP_2) | instskip(NEXT) | instid1(VALU_DEP_2)
	v_sub_f16_e32 v3, v23, v22
	v_sub_f16_e32 v4, v83, v4
	s_delay_alu instid0(VALU_DEP_2) | instskip(SKIP_1) | instid1(VALU_DEP_3)
	v_fma_f16 v22, v23, 2.0, -v3
	v_lshrrev_b32_e32 v23, 16, v150
	v_fma_f16 v24, v83, 2.0, -v4
	s_delay_alu instid0(VALU_DEP_1) | instskip(SKIP_2) | instid1(VALU_DEP_1)
	v_pack_b32_f16 v22, v24, v22
	ds_store_2addr_stride64_b32 v58, v0, v22 offset0:35 offset1:37
	v_lshrrev_b32_e32 v0, 16, v85
	v_mul_f16_e32 v22, v0, v23
	v_mul_f16_e32 v23, v85, v23
	s_delay_alu instid0(VALU_DEP_2) | instskip(NEXT) | instid1(VALU_DEP_2)
	v_fma_f16 v22, v85, v150, -v22
	v_fmac_f16_e64 v23, v0, v150
	v_pack_b32_f16 v0, v4, v3
	v_lshrrev_b32_e32 v4, 16, v173
	s_delay_alu instid0(VALU_DEP_4) | instskip(NEXT) | instid1(VALU_DEP_2)
	v_sub_f16_e64 v3, v173, v22
	v_sub_f16_e32 v22, v4, v23
	s_delay_alu instid0(VALU_DEP_1)
	v_pack_b32_f16 v23, v3, v22
	v_fma_f16 v3, v173, 2.0, -v3
	ds_store_2addr_stride64_b32 v58, v0, v23 offset0:52 offset1:54
	v_lshrrev_b32_e32 v23, 16, v148
	v_fma_f16 v0, v4, 2.0, -v22
	v_lshrrev_b32_e32 v4, 16, v175
	s_delay_alu instid0(VALU_DEP_3) | instskip(NEXT) | instid1(VALU_DEP_3)
	v_mul_f16_e64 v22, v175, v23
	v_pack_b32_f16 v0, v3, v0
	s_delay_alu instid0(VALU_DEP_2) | instskip(SKIP_2) | instid1(VALU_DEP_2)
	v_fmac_f16_e64 v22, v4, v148
	v_mul_f16_e32 v4, v4, v23
	v_lshrrev_b32_e32 v23, 16, v174
	v_fma_f16 v4, v175, v148, -v4
	s_delay_alu instid0(VALU_DEP_2) | instskip(NEXT) | instid1(VALU_DEP_2)
	v_sub_f16_e32 v3, v23, v22
	v_sub_f16_e64 v4, v174, v4
	s_delay_alu instid0(VALU_DEP_2) | instskip(SKIP_1) | instid1(VALU_DEP_3)
	v_fma_f16 v22, v23, 2.0, -v3
	v_lshrrev_b32_e32 v23, 16, v146
	v_fma_f16 v24, v174, 2.0, -v4
	s_delay_alu instid0(VALU_DEP_1) | instskip(SKIP_2) | instid1(VALU_DEP_1)
	v_pack_b32_f16 v22, v24, v22
	ds_store_2addr_stride64_b32 v58, v0, v22 offset0:39 offset1:41
	v_lshrrev_b32_e32 v0, 16, v176
	v_mul_f16_e32 v22, v0, v23
	v_mul_f16_e64 v23, v176, v23
	s_delay_alu instid0(VALU_DEP_2) | instskip(NEXT) | instid1(VALU_DEP_2)
	v_fma_f16 v22, v176, v146, -v22
	v_fmac_f16_e64 v23, v0, v146
	s_delay_alu instid0(VALU_DEP_2) | instskip(SKIP_1) | instid1(VALU_DEP_2)
	v_sub_f16_e32 v0, v28, v22
	v_lshrrev_b32_e32 v22, 16, v28
	v_fma_f16 v24, v28, 2.0, -v0
	s_delay_alu instid0(VALU_DEP_2) | instskip(NEXT) | instid1(VALU_DEP_1)
	v_sub_f16_e32 v2, v22, v23
	v_fma_f16 v22, v22, 2.0, -v2
	v_pack_b32_f16 v0, v0, v2
	s_delay_alu instid0(VALU_DEP_2)
	v_pack_b32_f16 v22, v24, v22
	ds_store_2addr_stride64_b32 v58, v22, v1 offset0:43 offset1:46
	v_pack_b32_f16 v1, v4, v3
	ds_store_2addr_stride64_b32 v58, v1, v0 offset0:56 offset1:58
	global_wb scope:SCOPE_SE
	s_wait_storecnt_dscnt 0x0
	s_barrier_signal -1
	s_barrier_wait -1
	global_inv scope:SCOPE_SE
	s_clause 0x7
	global_load_b32 v155, v58, s[6:7] offset:7640
	global_load_b32 v195, v58, s[6:7] offset:8152
	;; [unrolled: 1-line block ×8, first 2 shown]
	ds_load_2addr_stride64_b32 v[22:23], v58 offset0:28 offset1:30
	ds_load_2addr_stride64_b32 v[24:25], v58 offset0:32 offset1:34
	s_wait_dscnt 0x1
	v_lshrrev_b32_e32 v0, 16, v23
	s_wait_loadcnt 0x7
	v_lshrrev_b32_e32 v2, 16, v155
	s_wait_loadcnt 0x6
	;; [unrolled: 2-line block ×4, first 2 shown]
	v_lshrrev_b32_e32 v235, 16, v220
	v_mul_f16_e32 v1, v23, v2
	s_wait_dscnt 0x0
	v_mul_f16_e32 v3, v24, v4
	s_wait_loadcnt 0x2
	v_lshrrev_b32_e32 v238, 16, v221
	s_wait_loadcnt 0x1
	v_lshrrev_b32_e32 v243, 16, v222
	;; [unrolled: 2-line block ×3, first 2 shown]
	v_fmac_f16_e64 v1, v0, v155
	v_mul_f16_e32 v0, v0, v2
	v_lshrrev_b32_e32 v2, 16, v24
	s_delay_alu instid0(VALU_DEP_2) | instskip(NEXT) | instid1(VALU_DEP_2)
	v_fma_f16 v0, v23, v155, -v0
	v_fmac_f16_e64 v3, v2, v195
	v_mul_f16_e32 v2, v2, v4
	s_delay_alu instid0(VALU_DEP_1)
	v_fma_f16 v2, v24, v195, -v2
	ds_load_2addr_stride64_b32 v[23:24], v58 offset1:2
	s_wait_dscnt 0x0
	v_lshrrev_b32_e32 v4, 16, v23
	v_sub_f16_e32 v0, v23, v0
	v_lshrrev_b32_e32 v26, 16, v24
	v_sub_f16_e32 v2, v24, v2
	s_delay_alu instid0(VALU_DEP_4) | instskip(NEXT) | instid1(VALU_DEP_4)
	v_sub_f16_e32 v1, v4, v1
	v_fma_f16 v23, v23, 2.0, -v0
	s_delay_alu instid0(VALU_DEP_4) | instskip(NEXT) | instid1(VALU_DEP_4)
	v_sub_f16_e32 v3, v26, v3
	v_fma_f16 v24, v24, 2.0, -v2
	s_delay_alu instid0(VALU_DEP_4) | instskip(SKIP_1) | instid1(VALU_DEP_4)
	v_fma_f16 v4, v4, 2.0, -v1
	v_pack_b32_f16 v0, v0, v1
	v_pack_b32_f16 v2, v2, v3
	s_delay_alu instid0(VALU_DEP_3) | instskip(SKIP_1) | instid1(VALU_DEP_1)
	v_pack_b32_f16 v4, v23, v4
	v_fma_f16 v23, v26, 2.0, -v3
	v_pack_b32_f16 v23, v24, v23
	v_lshrrev_b32_e32 v24, 16, v216
	ds_store_2addr_stride64_b32 v58, v4, v23 offset1:2
	v_lshrrev_b32_e32 v4, 16, v25
	s_delay_alu instid0(VALU_DEP_1) | instskip(NEXT) | instid1(VALU_DEP_1)
	v_mul_f16_e32 v23, v4, v24
	v_fma_f16 v26, v25, v216, -v23
	v_mul_f16_e32 v25, v25, v24
	ds_load_2addr_stride64_b32 v[23:24], v58 offset0:4 offset1:6
	v_fmac_f16_e64 v25, v4, v216
	s_wait_dscnt 0x0
	v_lshrrev_b32_e32 v4, 16, v23
	v_sub_f16_e32 v3, v23, v26
	s_delay_alu instid0(VALU_DEP_2) | instskip(NEXT) | instid1(VALU_DEP_1)
	v_sub_f16_e32 v25, v4, v25
	v_pack_b32_f16 v26, v3, v25
	v_fma_f16 v3, v23, 2.0, -v3
	v_lshrrev_b32_e32 v23, 16, v24
	ds_store_2addr_stride64_b32 v58, v2, v26 offset0:32 offset1:34
	v_fma_f16 v2, v4, 2.0, -v25
	ds_load_2addr_stride64_b32 v[25:26], v58 offset0:36 offset1:38
	v_pack_b32_f16 v2, v3, v2
	s_wait_dscnt 0x0
	v_lshrrev_b32_e32 v4, 16, v25
	v_mul_f16_e64 v27, v25, v230
	s_delay_alu instid0(VALU_DEP_1) | instskip(SKIP_1) | instid1(VALU_DEP_2)
	v_fmac_f16_e64 v27, v4, v218
	v_mul_f16_e64 v4, v4, v230
	v_sub_f16_e32 v3, v23, v27
	s_delay_alu instid0(VALU_DEP_2) | instskip(NEXT) | instid1(VALU_DEP_2)
	v_fma_f16 v4, v25, v218, -v4
	v_fma_f16 v23, v23, 2.0, -v3
	s_delay_alu instid0(VALU_DEP_2) | instskip(NEXT) | instid1(VALU_DEP_1)
	v_sub_f16_e32 v4, v24, v4
	v_fma_f16 v24, v24, 2.0, -v4
	s_delay_alu instid0(VALU_DEP_1) | instskip(SKIP_2) | instid1(VALU_DEP_1)
	v_pack_b32_f16 v23, v24, v23
	ds_store_2addr_stride64_b32 v58, v2, v23 offset0:4 offset1:6
	v_lshrrev_b32_e32 v2, 16, v26
	v_mul_f16_e64 v23, v2, v235
	s_delay_alu instid0(VALU_DEP_1) | instskip(SKIP_2) | instid1(VALU_DEP_1)
	v_fma_f16 v25, v26, v220, -v23
	ds_load_2addr_stride64_b32 v[23:24], v58 offset0:8 offset1:10
	v_mul_f16_e64 v26, v26, v235
	v_fmac_f16_e64 v26, v2, v220
	v_pack_b32_f16 v2, v4, v3
	s_wait_dscnt 0x0
	v_lshrrev_b32_e32 v4, 16, v23
	v_sub_f16_e32 v3, v23, v25
	s_delay_alu instid0(VALU_DEP_2) | instskip(NEXT) | instid1(VALU_DEP_1)
	v_sub_f16_e32 v25, v4, v26
	v_pack_b32_f16 v26, v3, v25
	v_fma_f16 v3, v23, 2.0, -v3
	v_lshrrev_b32_e32 v23, 16, v24
	ds_store_2addr_stride64_b32 v58, v2, v26 offset0:36 offset1:38
	v_fma_f16 v2, v4, 2.0, -v25
	ds_load_2addr_stride64_b32 v[25:26], v58 offset0:40 offset1:42
	v_pack_b32_f16 v2, v3, v2
	s_wait_dscnt 0x0
	v_lshrrev_b32_e32 v4, 16, v25
	v_mul_f16_e64 v27, v25, v238
	s_delay_alu instid0(VALU_DEP_1) | instskip(SKIP_1) | instid1(VALU_DEP_2)
	v_fmac_f16_e64 v27, v4, v221
	v_mul_f16_e64 v4, v4, v238
	v_sub_f16_e32 v3, v23, v27
	s_delay_alu instid0(VALU_DEP_2) | instskip(NEXT) | instid1(VALU_DEP_2)
	v_fma_f16 v4, v25, v221, -v4
	v_fma_f16 v23, v23, 2.0, -v3
	s_delay_alu instid0(VALU_DEP_2) | instskip(NEXT) | instid1(VALU_DEP_1)
	v_sub_f16_e32 v4, v24, v4
	v_fma_f16 v24, v24, 2.0, -v4
	s_delay_alu instid0(VALU_DEP_1) | instskip(SKIP_2) | instid1(VALU_DEP_1)
	v_pack_b32_f16 v23, v24, v23
	ds_store_2addr_stride64_b32 v58, v2, v23 offset0:8 offset1:10
	v_lshrrev_b32_e32 v2, 16, v26
	v_mul_f16_e64 v23, v2, v243
	s_delay_alu instid0(VALU_DEP_1) | instskip(SKIP_2) | instid1(VALU_DEP_1)
	v_fma_f16 v25, v26, v222, -v23
	ds_load_2addr_stride64_b32 v[23:24], v58 offset0:12 offset1:14
	v_mul_f16_e64 v26, v26, v243
	v_fmac_f16_e64 v26, v2, v222
	v_pack_b32_f16 v2, v4, v3
	s_wait_dscnt 0x0
	v_lshrrev_b32_e32 v4, 16, v23
	v_sub_f16_e32 v3, v23, v25
	s_delay_alu instid0(VALU_DEP_2) | instskip(NEXT) | instid1(VALU_DEP_1)
	v_sub_f16_e32 v25, v4, v26
	v_pack_b32_f16 v26, v3, v25
	v_fma_f16 v3, v23, 2.0, -v3
	v_lshrrev_b32_e32 v23, 16, v24
	ds_store_2addr_stride64_b32 v58, v2, v26 offset0:40 offset1:42
	v_fma_f16 v2, v4, 2.0, -v25
	ds_load_2addr_stride64_b32 v[25:26], v58 offset0:44 offset1:46
	v_pack_b32_f16 v2, v3, v2
	s_wait_dscnt 0x0
	v_lshrrev_b32_e32 v4, 16, v25
	v_mul_f16_e64 v27, v25, v248
	s_delay_alu instid0(VALU_DEP_1) | instskip(SKIP_1) | instid1(VALU_DEP_2)
	v_fmac_f16_e64 v27, v4, v223
	v_mul_f16_e64 v4, v4, v248
	v_sub_f16_e32 v3, v23, v27
	s_delay_alu instid0(VALU_DEP_2) | instskip(NEXT) | instid1(VALU_DEP_2)
	v_fma_f16 v4, v25, v223, -v4
	v_fma_f16 v23, v23, 2.0, -v3
	s_delay_alu instid0(VALU_DEP_2) | instskip(NEXT) | instid1(VALU_DEP_1)
	v_sub_f16_e32 v4, v24, v4
	v_fma_f16 v24, v24, 2.0, -v4
	s_delay_alu instid0(VALU_DEP_1)
	v_pack_b32_f16 v23, v24, v23
	ds_store_2addr_stride64_b32 v58, v2, v23 offset0:12 offset1:14
	s_clause 0x6
	global_load_b32 v251, v58, s[6:7] offset:11736
	global_load_b32 v85, v58, s[6:7] offset:12248
	;; [unrolled: 1-line block ×7, first 2 shown]
	v_lshrrev_b32_e32 v2, 16, v26
	s_mov_b32 s6, 0x11111111
	s_mov_b32 s7, 0x3f311111
	s_wait_loadcnt 0x6
	v_lshrrev_b32_e32 v181, 16, v251
	s_wait_loadcnt 0x5
	v_lshrrev_b32_e32 v180, 16, v85
	;; [unrolled: 2-line block ×5, first 2 shown]
	v_mul_f16_e64 v23, v2, v181
	s_wait_loadcnt 0x1
	v_lshrrev_b32_e32 v174, 16, v81
	s_wait_loadcnt 0x0
	v_lshrrev_b32_e32 v173, 16, v80
	v_fma_f16 v25, v26, v251, -v23
	ds_load_2addr_stride64_b32 v[23:24], v58 offset0:16 offset1:18
	v_mul_f16_e64 v26, v26, v181
	s_delay_alu instid0(VALU_DEP_1) | instskip(SKIP_4) | instid1(VALU_DEP_2)
	v_fmac_f16_e64 v26, v2, v251
	v_pack_b32_f16 v2, v4, v3
	s_wait_dscnt 0x0
	v_lshrrev_b32_e32 v4, 16, v23
	v_sub_f16_e32 v3, v23, v25
	v_sub_f16_e32 v25, v4, v26
	s_delay_alu instid0(VALU_DEP_1)
	v_pack_b32_f16 v26, v3, v25
	v_fma_f16 v3, v23, 2.0, -v3
	v_lshrrev_b32_e32 v23, 16, v24
	ds_store_2addr_stride64_b32 v58, v2, v26 offset0:44 offset1:46
	v_fma_f16 v2, v4, 2.0, -v25
	ds_load_2addr_stride64_b32 v[25:26], v58 offset0:48 offset1:50
	v_pack_b32_f16 v2, v3, v2
	s_wait_dscnt 0x0
	v_lshrrev_b32_e32 v4, 16, v25
	v_mul_f16_e64 v27, v25, v180
	s_delay_alu instid0(VALU_DEP_1) | instskip(SKIP_1) | instid1(VALU_DEP_2)
	v_fmac_f16_e32 v27, v4, v85
	v_mul_f16_e64 v4, v4, v180
	v_sub_f16_e32 v3, v23, v27
	s_delay_alu instid0(VALU_DEP_2) | instskip(NEXT) | instid1(VALU_DEP_2)
	v_fma_f16 v4, v25, v85, -v4
	v_fma_f16 v23, v23, 2.0, -v3
	s_delay_alu instid0(VALU_DEP_2) | instskip(NEXT) | instid1(VALU_DEP_1)
	v_sub_f16_e32 v4, v24, v4
	v_fma_f16 v24, v24, 2.0, -v4
	s_delay_alu instid0(VALU_DEP_1) | instskip(SKIP_2) | instid1(VALU_DEP_1)
	v_pack_b32_f16 v23, v24, v23
	ds_store_2addr_stride64_b32 v58, v2, v23 offset0:16 offset1:18
	v_lshrrev_b32_e32 v2, 16, v26
	v_mul_f16_e64 v23, v2, v179
	s_delay_alu instid0(VALU_DEP_1) | instskip(SKIP_2) | instid1(VALU_DEP_1)
	v_fma_f16 v25, v26, v84, -v23
	ds_load_2addr_stride64_b32 v[23:24], v58 offset0:20 offset1:22
	v_mul_f16_e64 v26, v26, v179
	v_fmac_f16_e32 v26, v2, v84
	v_pack_b32_f16 v2, v4, v3
	s_wait_dscnt 0x0
	v_lshrrev_b32_e32 v4, 16, v23
	v_sub_f16_e32 v3, v23, v25
	s_delay_alu instid0(VALU_DEP_2) | instskip(NEXT) | instid1(VALU_DEP_1)
	v_sub_f16_e32 v25, v4, v26
	v_pack_b32_f16 v26, v3, v25
	v_fma_f16 v3, v23, 2.0, -v3
	v_lshrrev_b32_e32 v23, 16, v24
	ds_store_2addr_stride64_b32 v58, v2, v26 offset0:48 offset1:50
	v_fma_f16 v2, v4, 2.0, -v25
	ds_load_2addr_stride64_b32 v[25:26], v58 offset0:52 offset1:54
	v_pack_b32_f16 v2, v3, v2
	s_wait_dscnt 0x0
	v_lshrrev_b32_e32 v4, 16, v25
	v_mul_f16_e64 v27, v25, v176
	s_delay_alu instid0(VALU_DEP_1) | instskip(SKIP_1) | instid1(VALU_DEP_2)
	v_fmac_f16_e32 v27, v4, v83
	v_mul_f16_e64 v4, v4, v176
	v_sub_f16_e32 v3, v23, v27
	s_delay_alu instid0(VALU_DEP_2) | instskip(NEXT) | instid1(VALU_DEP_2)
	v_fma_f16 v4, v25, v83, -v4
	v_fma_f16 v23, v23, 2.0, -v3
	s_delay_alu instid0(VALU_DEP_2) | instskip(NEXT) | instid1(VALU_DEP_1)
	v_sub_f16_e32 v4, v24, v4
	v_fma_f16 v24, v24, 2.0, -v4
	s_delay_alu instid0(VALU_DEP_1) | instskip(SKIP_2) | instid1(VALU_DEP_1)
	v_pack_b32_f16 v23, v24, v23
	ds_store_2addr_stride64_b32 v58, v2, v23 offset0:20 offset1:22
	v_lshrrev_b32_e32 v2, 16, v26
	v_mul_f16_e64 v23, v2, v175
	s_delay_alu instid0(VALU_DEP_1) | instskip(SKIP_2) | instid1(VALU_DEP_1)
	v_fma_f16 v25, v26, v82, -v23
	ds_load_2addr_stride64_b32 v[23:24], v58 offset0:24 offset1:26
	v_mul_f16_e64 v26, v26, v175
	v_fmac_f16_e32 v26, v2, v82
	v_pack_b32_f16 v2, v4, v3
	s_wait_dscnt 0x0
	v_lshrrev_b32_e32 v4, 16, v23
	v_sub_f16_e32 v3, v23, v25
	s_delay_alu instid0(VALU_DEP_2) | instskip(NEXT) | instid1(VALU_DEP_1)
	v_sub_f16_e32 v25, v4, v26
	v_pack_b32_f16 v26, v3, v25
	v_fma_f16 v3, v23, 2.0, -v3
	v_lshrrev_b32_e32 v23, 16, v24
	ds_store_2addr_stride64_b32 v58, v2, v26 offset0:52 offset1:54
	v_fma_f16 v2, v4, 2.0, -v25
	ds_load_2addr_stride64_b32 v[25:26], v58 offset0:56 offset1:58
	v_pack_b32_f16 v2, v3, v2
	s_wait_dscnt 0x0
	v_lshrrev_b32_e32 v4, 16, v25
	v_mul_f16_e64 v27, v25, v174
	s_delay_alu instid0(VALU_DEP_1) | instskip(SKIP_1) | instid1(VALU_DEP_2)
	v_fmac_f16_e32 v27, v4, v81
	v_mul_f16_e64 v4, v4, v174
	v_sub_f16_e32 v3, v23, v27
	s_delay_alu instid0(VALU_DEP_2) | instskip(NEXT) | instid1(VALU_DEP_2)
	v_fma_f16 v4, v25, v81, -v4
	v_fma_f16 v23, v23, 2.0, -v3
	s_delay_alu instid0(VALU_DEP_2) | instskip(NEXT) | instid1(VALU_DEP_1)
	v_sub_f16_e32 v4, v24, v4
	v_fma_f16 v24, v24, 2.0, -v4
	s_delay_alu instid0(VALU_DEP_1) | instskip(SKIP_3) | instid1(VALU_DEP_1)
	v_pack_b32_f16 v23, v24, v23
	v_mul_f16_e64 v24, v26, v173
	ds_store_2addr_stride64_b32 v58, v2, v23 offset0:24 offset1:26
	v_lshrrev_b32_e32 v2, 16, v26
	v_mul_f16_e64 v23, v2, v173
	v_fmac_f16_e32 v24, v2, v80
	s_delay_alu instid0(VALU_DEP_2) | instskip(NEXT) | instid1(VALU_DEP_1)
	v_fma_f16 v23, v26, v80, -v23
	v_sub_f16_e32 v2, v22, v23
	v_lshrrev_b32_e32 v23, 16, v22
	s_delay_alu instid0(VALU_DEP_2) | instskip(NEXT) | instid1(VALU_DEP_2)
	v_fma_f16 v22, v22, 2.0, -v2
	v_sub_f16_e32 v1, v23, v24
	s_delay_alu instid0(VALU_DEP_1) | instskip(SKIP_1) | instid1(VALU_DEP_2)
	v_fma_f16 v23, v23, 2.0, -v1
	v_pack_b32_f16 v1, v2, v1
	v_pack_b32_f16 v22, v22, v23
	ds_store_2addr_stride64_b32 v58, v22, v0 offset0:28 offset1:30
	v_pack_b32_f16 v0, v4, v3
	ds_store_2addr_stride64_b32 v58, v0, v1 offset0:56 offset1:58
	global_wb scope:SCOPE_SE
	s_wait_dscnt 0x0
	s_barrier_signal -1
	s_barrier_wait -1
	global_inv scope:SCOPE_SE
	s_clause 0x1
	global_load_b32 v0, v58, s[4:5] offset:15360
	global_load_b32 v1, v58, s[2:3] offset:14848
	ds_load_2addr_stride64_b32 v[22:23], v58 offset1:2
	s_wait_dscnt 0x0
	v_lshrrev_b32_e32 v3, 16, v22
	s_wait_loadcnt 0x1
	v_lshrrev_b32_e32 v2, 16, v0
	s_delay_alu instid0(VALU_DEP_1) | instskip(NEXT) | instid1(VALU_DEP_3)
	v_mul_f16_e32 v4, v22, v2
	v_mul_f16_e32 v2, v3, v2
	s_delay_alu instid0(VALU_DEP_2) | instskip(NEXT) | instid1(VALU_DEP_2)
	v_fmac_f16_e32 v4, v3, v0
	v_fma_f16 v0, v22, v0, -v2
	global_load_b32 v2, v58, s[2:3] offset:512
	v_lshrrev_b32_e32 v3, 16, v23
	s_clause 0x4
	global_load_b32 v24, v58, s[2:3] offset:2048
	global_load_b32 v25, v58, s[2:3] offset:3584
	global_load_b32 v26, v58, s[2:3] offset:4096
	global_load_b32 v27, v58, s[2:3] offset:2560
	global_load_b32 v28, v58, s[2:3] offset:1024
	v_pack_b32_f16 v0, v0, v4
	s_wait_loadcnt 0x5
	v_lshrrev_b32_e32 v22, 16, v2
	s_delay_alu instid0(VALU_DEP_1) | instskip(SKIP_1) | instid1(VALU_DEP_2)
	v_mul_f16_e32 v29, v3, v22
	v_mul_f16_e32 v22, v23, v22
	v_fma_f16 v23, v23, v2, -v29
	s_delay_alu instid0(VALU_DEP_2) | instskip(NEXT) | instid1(VALU_DEP_1)
	v_fmac_f16_e32 v22, v3, v2
	v_pack_b32_f16 v2, v23, v22
	ds_load_2addr_stride64_b32 v[22:23], v58 offset0:12 offset1:14
	ds_store_2addr_stride64_b32 v58, v0, v2 offset1:2
	global_load_b32 v0, v58, s[2:3] offset:3072
	s_wait_dscnt 0x1
	v_lshrrev_b32_e32 v3, 16, v22
	s_wait_loadcnt 0x0
	v_lshrrev_b32_e32 v2, 16, v0
	s_delay_alu instid0(VALU_DEP_1) | instskip(NEXT) | instid1(VALU_DEP_3)
	v_mul_f16_e32 v4, v22, v2
	v_mul_f16_e32 v2, v3, v2
	s_delay_alu instid0(VALU_DEP_2) | instskip(NEXT) | instid1(VALU_DEP_2)
	v_fmac_f16_e32 v4, v3, v0
	v_fma_f16 v0, v22, v0, -v2
	v_lshrrev_b32_e32 v2, 16, v23
	v_lshrrev_b32_e32 v3, 16, v25
	s_delay_alu instid0(VALU_DEP_3) | instskip(NEXT) | instid1(VALU_DEP_2)
	v_pack_b32_f16 v0, v0, v4
	v_mul_f16_e32 v22, v2, v3
	v_mul_f16_e32 v3, v23, v3
	s_delay_alu instid0(VALU_DEP_2) | instskip(NEXT) | instid1(VALU_DEP_2)
	v_fma_f16 v29, v23, v25, -v22
	v_fmac_f16_e32 v3, v2, v25
	s_clause 0x4
	global_load_b32 v2, v58, s[2:3] offset:6144
	global_load_b32 v25, v58, s[2:3] offset:6656
	;; [unrolled: 1-line block ×5, first 2 shown]
	ds_load_2addr_stride64_b32 v[22:23], v58 offset0:24 offset1:26
	v_pack_b32_f16 v3, v29, v3
	ds_store_2addr_stride64_b32 v58, v0, v3 offset0:12 offset1:14
	s_wait_dscnt 0x1
	v_lshrrev_b32_e32 v34, 16, v22
	s_wait_loadcnt 0x4
	v_lshrrev_b32_e32 v33, 16, v2
	s_delay_alu instid0(VALU_DEP_1) | instskip(NEXT) | instid1(VALU_DEP_3)
	v_mul_f16_e32 v35, v22, v33
	v_mul_f16_e32 v33, v34, v33
	s_delay_alu instid0(VALU_DEP_2) | instskip(NEXT) | instid1(VALU_DEP_2)
	v_fmac_f16_e32 v35, v34, v2
	v_fma_f16 v2, v22, v2, -v33
	v_lshrrev_b32_e32 v22, 16, v23
	s_wait_loadcnt 0x3
	v_lshrrev_b32_e32 v33, 16, v25
	s_delay_alu instid0(VALU_DEP_3) | instskip(NEXT) | instid1(VALU_DEP_2)
	v_pack_b32_f16 v0, v2, v35
	v_mul_f16_e32 v34, v22, v33
	v_mul_f16_e32 v33, v23, v33
	s_delay_alu instid0(VALU_DEP_2) | instskip(NEXT) | instid1(VALU_DEP_2)
	v_fma_f16 v23, v23, v25, -v34
	v_fmac_f16_e32 v33, v22, v25
	s_delay_alu instid0(VALU_DEP_1)
	v_pack_b32_f16 v2, v23, v33
	ds_store_2addr_stride64_b32 v58, v0, v2 offset0:24 offset1:26
	s_clause 0x5
	global_load_b32 v0, v58, s[2:3] offset:9216
	global_load_b32 v2, v58, s[2:3] offset:9728
	;; [unrolled: 1-line block ×6, first 2 shown]
	ds_load_2addr_stride64_b32 v[22:23], v58 offset0:36 offset1:38
	s_wait_dscnt 0x0
	v_lshrrev_b32_e32 v34, 16, v22
	s_wait_loadcnt 0x5
	v_lshrrev_b32_e32 v33, 16, v0
	s_delay_alu instid0(VALU_DEP_1) | instskip(NEXT) | instid1(VALU_DEP_3)
	v_mul_f16_e32 v35, v22, v33
	v_mul_f16_e32 v33, v34, v33
	s_delay_alu instid0(VALU_DEP_2) | instskip(NEXT) | instid1(VALU_DEP_2)
	v_fmac_f16_e32 v35, v34, v0
	v_fma_f16 v0, v22, v0, -v33
	v_lshrrev_b32_e32 v22, 16, v23
	s_wait_loadcnt 0x4
	v_lshrrev_b32_e32 v33, 16, v2
	s_delay_alu instid0(VALU_DEP_3) | instskip(NEXT) | instid1(VALU_DEP_2)
	v_pack_b32_f16 v0, v0, v35
	v_mul_f16_e32 v34, v22, v33
	v_mul_f16_e32 v33, v23, v33
	s_delay_alu instid0(VALU_DEP_2) | instskip(NEXT) | instid1(VALU_DEP_2)
	v_fma_f16 v34, v23, v2, -v34
	v_fmac_f16_e32 v33, v22, v2
	global_load_b32 v2, v58, s[2:3] offset:12288
	ds_load_2addr_stride64_b32 v[22:23], v58 offset0:48 offset1:50
	s_wait_dscnt 0x0
	v_lshrrev_b32_e32 v37, 16, v22
	s_wait_loadcnt 0x0
	v_lshrrev_b32_e32 v36, 16, v2
	s_delay_alu instid0(VALU_DEP_1) | instskip(NEXT) | instid1(VALU_DEP_3)
	v_mul_f16_e32 v38, v22, v36
	v_mul_f16_e32 v36, v37, v36
	s_delay_alu instid0(VALU_DEP_2) | instskip(NEXT) | instid1(VALU_DEP_2)
	v_fmac_f16_e32 v38, v37, v2
	v_fma_f16 v2, v22, v2, -v36
	s_clause 0x1
	global_load_b32 v22, v58, s[2:3] offset:12800
	global_load_b32 v36, v58, s[2:3] offset:14336
	v_lshrrev_b32_e32 v37, 16, v23
	global_load_b32 v39, v58, s[2:3] offset:13312
	s_wait_loadcnt 0x2
	v_lshrrev_b32_e32 v40, 16, v22
	s_delay_alu instid0(VALU_DEP_1) | instskip(SKIP_1) | instid1(VALU_DEP_2)
	v_mul_f16_e32 v41, v37, v40
	v_mul_f16_e32 v40, v23, v40
	v_fma_f16 v23, v23, v22, -v41
	s_delay_alu instid0(VALU_DEP_2)
	v_fmac_f16_e32 v40, v37, v22
	v_pack_b32_f16 v22, v34, v33
	ds_store_2addr_stride64_b32 v58, v0, v22 offset0:36 offset1:38
	v_pack_b32_f16 v0, v2, v38
	v_pack_b32_f16 v2, v23, v40
	ds_load_2addr_stride64_b32 v[22:23], v58 offset0:4 offset1:6
	ds_store_2addr_stride64_b32 v58, v0, v2 offset0:48 offset1:50
	global_load_b32 v0, v58, s[2:3] offset:1536
	s_wait_dscnt 0x1
	v_lshrrev_b32_e32 v33, 16, v23
	s_wait_loadcnt 0x0
	v_lshrrev_b32_e32 v2, 16, v0
	s_delay_alu instid0(VALU_DEP_1) | instskip(NEXT) | instid1(VALU_DEP_3)
	v_mul_f16_e32 v34, v23, v2
	v_mul_f16_e32 v2, v33, v2
	s_delay_alu instid0(VALU_DEP_2) | instskip(NEXT) | instid1(VALU_DEP_2)
	v_fmac_f16_e32 v34, v33, v0
	v_fma_f16 v0, v23, v0, -v2
	v_lshrrev_b32_e32 v2, 16, v22
	v_lshrrev_b32_e32 v23, 16, v28
	s_delay_alu instid0(VALU_DEP_3) | instskip(NEXT) | instid1(VALU_DEP_2)
	v_pack_b32_f16 v0, v0, v34
	v_mul_f16_e32 v33, v2, v23
	v_mul_f16_e32 v35, v22, v23
	s_delay_alu instid0(VALU_DEP_2)
	v_fma_f16 v33, v22, v28, -v33
	ds_load_2addr_stride64_b32 v[22:23], v58 offset0:8 offset1:10
	v_fmac_f16_e32 v35, v2, v28
	v_lshrrev_b32_e32 v2, 16, v24
	s_wait_dscnt 0x0
	v_lshrrev_b32_e32 v28, 16, v22
	s_delay_alu instid0(VALU_DEP_2) | instskip(NEXT) | instid1(VALU_DEP_2)
	v_mul_f16_e32 v37, v22, v2
	v_mul_f16_e32 v2, v28, v2
	s_delay_alu instid0(VALU_DEP_2) | instskip(NEXT) | instid1(VALU_DEP_2)
	v_fmac_f16_e32 v37, v28, v24
	v_fma_f16 v2, v22, v24, -v2
	v_lshrrev_b32_e32 v22, 16, v23
	v_lshrrev_b32_e32 v24, 16, v27
	s_delay_alu instid0(VALU_DEP_1) | instskip(SKIP_1) | instid1(VALU_DEP_2)
	v_mul_f16_e32 v28, v22, v24
	v_mul_f16_e32 v24, v23, v24
	v_fma_f16 v23, v23, v27, -v28
	s_delay_alu instid0(VALU_DEP_2)
	v_fmac_f16_e32 v24, v22, v27
	v_pack_b32_f16 v22, v33, v35
	ds_store_2addr_stride64_b32 v58, v22, v0 offset0:4 offset1:6
	v_pack_b32_f16 v0, v2, v37
	v_pack_b32_f16 v2, v23, v24
	ds_store_2addr_stride64_b32 v58, v0, v2 offset0:8 offset1:10
	s_clause 0x1
	global_load_b32 v0, v58, s[2:3] offset:4608
	global_load_b32 v2, v58, s[2:3] offset:5120
	ds_load_2addr_stride64_b32 v[22:23], v58 offset0:16 offset1:18
	s_wait_dscnt 0x0
	v_lshrrev_b32_e32 v27, 16, v23
	s_wait_loadcnt 0x1
	v_lshrrev_b32_e32 v24, 16, v0
	s_delay_alu instid0(VALU_DEP_1) | instskip(NEXT) | instid1(VALU_DEP_3)
	v_mul_f16_e32 v28, v23, v24
	v_mul_f16_e32 v24, v27, v24
	s_delay_alu instid0(VALU_DEP_2) | instskip(NEXT) | instid1(VALU_DEP_2)
	v_fmac_f16_e32 v28, v27, v0
	v_fma_f16 v0, v23, v0, -v24
	v_lshrrev_b32_e32 v23, 16, v22
	v_lshrrev_b32_e32 v24, 16, v26
	s_delay_alu instid0(VALU_DEP_3) | instskip(NEXT) | instid1(VALU_DEP_2)
	v_pack_b32_f16 v0, v0, v28
	v_mul_f16_e32 v27, v23, v24
	v_mul_f16_e32 v24, v22, v24
	s_delay_alu instid0(VALU_DEP_2) | instskip(NEXT) | instid1(VALU_DEP_2)
	v_fma_f16 v27, v22, v26, -v27
	v_fmac_f16_e32 v24, v23, v26
	ds_load_2addr_stride64_b32 v[22:23], v58 offset0:20 offset1:22
	s_wait_loadcnt 0x0
	v_lshrrev_b32_e32 v26, 16, v2
	s_wait_dscnt 0x0
	v_lshrrev_b32_e32 v33, 16, v22
	s_delay_alu instid0(VALU_DEP_2) | instskip(NEXT) | instid1(VALU_DEP_2)
	v_mul_f16_e32 v34, v22, v26
	v_mul_f16_e32 v26, v33, v26
	s_delay_alu instid0(VALU_DEP_2) | instskip(NEXT) | instid1(VALU_DEP_2)
	v_fmac_f16_e32 v34, v33, v2
	v_fma_f16 v2, v22, v2, -v26
	v_lshrrev_b32_e32 v22, 16, v23
	v_lshrrev_b32_e32 v26, 16, v32
	s_delay_alu instid0(VALU_DEP_1) | instskip(SKIP_1) | instid1(VALU_DEP_2)
	v_mul_f16_e32 v33, v22, v26
	v_mul_f16_e32 v26, v23, v26
	v_fma_f16 v23, v23, v32, -v33
	s_delay_alu instid0(VALU_DEP_2)
	v_fmac_f16_e32 v26, v22, v32
	v_pack_b32_f16 v22, v27, v24
	ds_store_2addr_stride64_b32 v58, v22, v0 offset0:16 offset1:18
	v_pack_b32_f16 v0, v2, v34
	v_pack_b32_f16 v2, v23, v26
	ds_load_2addr_stride64_b32 v[22:23], v58 offset0:28 offset1:30
	ds_store_2addr_stride64_b32 v58, v0, v2 offset0:20 offset1:22
	global_load_b32 v0, v58, s[2:3] offset:7680
	s_wait_dscnt 0x1
	v_lshrrev_b32_e32 v24, 16, v23
	s_wait_loadcnt 0x0
	v_lshrrev_b32_e32 v2, 16, v0
	s_delay_alu instid0(VALU_DEP_1) | instskip(NEXT) | instid1(VALU_DEP_3)
	v_mul_f16_e32 v26, v23, v2
	v_mul_f16_e32 v2, v24, v2
	s_delay_alu instid0(VALU_DEP_2) | instskip(NEXT) | instid1(VALU_DEP_2)
	v_fmac_f16_e32 v26, v24, v0
	v_fma_f16 v0, v23, v0, -v2
	v_lshrrev_b32_e32 v2, 16, v22
	v_lshrrev_b32_e32 v23, 16, v31
	s_delay_alu instid0(VALU_DEP_3) | instskip(NEXT) | instid1(VALU_DEP_2)
	v_pack_b32_f16 v0, v0, v26
	v_mul_f16_e32 v24, v2, v23
	v_mul_f16_e32 v27, v22, v23
	s_delay_alu instid0(VALU_DEP_2)
	v_fma_f16 v24, v22, v31, -v24
	ds_load_2addr_stride64_b32 v[22:23], v58 offset0:32 offset1:34
	v_fmac_f16_e32 v27, v2, v31
	v_lshrrev_b32_e32 v2, 16, v30
	s_wait_dscnt 0x0
	v_lshrrev_b32_e32 v28, 16, v22
	s_delay_alu instid0(VALU_DEP_2) | instskip(NEXT) | instid1(VALU_DEP_2)
	v_mul_f16_e32 v31, v22, v2
	v_mul_f16_e32 v2, v28, v2
	s_delay_alu instid0(VALU_DEP_2) | instskip(SKIP_1) | instid1(VALU_DEP_3)
	v_fmac_f16_e32 v31, v28, v30
	v_lshrrev_b32_e32 v28, 16, v29
	v_fma_f16 v2, v22, v30, -v2
	v_lshrrev_b32_e32 v22, 16, v23
	s_delay_alu instid0(VALU_DEP_1) | instskip(SKIP_1) | instid1(VALU_DEP_2)
	v_mul_f16_e32 v30, v22, v28
	v_mul_f16_e32 v28, v23, v28
	v_fma_f16 v23, v23, v29, -v30
	s_delay_alu instid0(VALU_DEP_2)
	v_fmac_f16_e32 v28, v22, v29
	v_pack_b32_f16 v22, v24, v27
	ds_store_2addr_stride64_b32 v58, v22, v0 offset0:28 offset1:30
	v_pack_b32_f16 v0, v2, v31
	v_pack_b32_f16 v2, v23, v28
	ds_load_2addr_stride64_b32 v[22:23], v58 offset0:40 offset1:42
	ds_store_2addr_stride64_b32 v58, v0, v2 offset0:32 offset1:34
	global_load_b32 v0, v58, s[2:3] offset:10752
	s_wait_dscnt 0x1
	v_lshrrev_b32_e32 v24, 16, v23
	s_wait_loadcnt 0x0
	v_lshrrev_b32_e32 v2, 16, v0
	s_delay_alu instid0(VALU_DEP_1) | instskip(NEXT) | instid1(VALU_DEP_3)
	v_mul_f16_e32 v26, v23, v2
	v_mul_f16_e32 v2, v24, v2
	s_delay_alu instid0(VALU_DEP_2) | instskip(NEXT) | instid1(VALU_DEP_2)
	v_fmac_f16_e32 v26, v24, v0
	v_fma_f16 v0, v23, v0, -v2
	v_lshrrev_b32_e32 v2, 16, v22
	v_lshrrev_b32_e32 v23, 16, v25
	s_delay_alu instid0(VALU_DEP_3) | instskip(NEXT) | instid1(VALU_DEP_2)
	v_pack_b32_f16 v0, v0, v26
	v_mul_f16_e32 v24, v2, v23
	v_mul_f16_e32 v27, v22, v23
	s_delay_alu instid0(VALU_DEP_2)
	v_fma_f16 v24, v22, v25, -v24
	ds_load_2addr_stride64_b32 v[22:23], v58 offset0:44 offset1:46
	v_fmac_f16_e32 v27, v2, v25
	v_lshrrev_b32_e32 v2, 16, v3
	s_wait_dscnt 0x0
	v_lshrrev_b32_e32 v25, 16, v22
	s_delay_alu instid0(VALU_DEP_2) | instskip(NEXT) | instid1(VALU_DEP_2)
	v_mul_f16_e32 v28, v22, v2
	v_mul_f16_e32 v2, v25, v2
	s_delay_alu instid0(VALU_DEP_2) | instskip(NEXT) | instid1(VALU_DEP_2)
	v_fmac_f16_e32 v28, v25, v3
	v_fma_f16 v2, v22, v3, -v2
	v_lshrrev_b32_e32 v3, 16, v23
	v_lshrrev_b32_e32 v22, 16, v4
	s_delay_alu instid0(VALU_DEP_1) | instskip(SKIP_1) | instid1(VALU_DEP_2)
	v_mul_f16_e32 v25, v3, v22
	v_mul_f16_e32 v22, v23, v22
	v_fma_f16 v23, v23, v4, -v25
	s_delay_alu instid0(VALU_DEP_2)
	v_fmac_f16_e32 v22, v3, v4
	v_pack_b32_f16 v3, v24, v27
	ds_store_2addr_stride64_b32 v58, v3, v0 offset0:40 offset1:42
	v_pack_b32_f16 v0, v2, v28
	v_pack_b32_f16 v2, v23, v22
	ds_load_2addr_stride64_b32 v[22:23], v58 offset0:52 offset1:54
	ds_store_2addr_stride64_b32 v58, v0, v2 offset0:44 offset1:46
	global_load_b32 v0, v58, s[2:3] offset:13824
	s_wait_dscnt 0x1
	v_lshrrev_b32_e32 v3, 16, v23
	s_wait_loadcnt 0x0
	v_lshrrev_b32_e32 v2, 16, v0
	s_delay_alu instid0(VALU_DEP_1) | instskip(NEXT) | instid1(VALU_DEP_3)
	v_mul_f16_e32 v4, v23, v2
	v_mul_f16_e32 v2, v3, v2
	s_delay_alu instid0(VALU_DEP_2) | instskip(NEXT) | instid1(VALU_DEP_2)
	v_fmac_f16_e32 v4, v3, v0
	v_fma_f16 v0, v23, v0, -v2
	v_lshrrev_b32_e32 v2, 16, v22
	v_lshrrev_b32_e32 v3, 16, v39
	s_delay_alu instid0(VALU_DEP_3) | instskip(NEXT) | instid1(VALU_DEP_2)
	v_pack_b32_f16 v0, v0, v4
	v_mul_f16_e32 v23, v2, v3
	v_mul_f16_e32 v3, v22, v3
	s_delay_alu instid0(VALU_DEP_2)
	v_fma_f16 v24, v22, v39, -v23
	ds_load_2addr_stride64_b32 v[22:23], v58 offset0:56 offset1:58
	v_fmac_f16_e32 v3, v2, v39
	v_lshrrev_b32_e32 v2, 16, v36
	s_wait_dscnt 0x0
	v_lshrrev_b32_e32 v25, 16, v22
	s_delay_alu instid0(VALU_DEP_2) | instskip(NEXT) | instid1(VALU_DEP_2)
	v_mul_f16_e32 v26, v22, v2
	v_mul_f16_e32 v2, v25, v2
	s_delay_alu instid0(VALU_DEP_2) | instskip(SKIP_1) | instid1(VALU_DEP_3)
	v_fmac_f16_e32 v26, v25, v36
	v_lshrrev_b32_e32 v25, 16, v1
	v_fma_f16 v2, v22, v36, -v2
	v_lshrrev_b32_e32 v22, 16, v23
	s_delay_alu instid0(VALU_DEP_1) | instskip(SKIP_1) | instid1(VALU_DEP_2)
	v_mul_f16_e32 v27, v22, v25
	v_mul_f16_e32 v25, v23, v25
	v_fma_f16 v23, v23, v1, -v27
	s_delay_alu instid0(VALU_DEP_2)
	v_fmac_f16_e32 v25, v22, v1
	v_pack_b32_f16 v1, v24, v3
	ds_store_2addr_stride64_b32 v58, v1, v0 offset0:52 offset1:54
	v_pack_b32_f16 v0, v2, v26
	v_pack_b32_f16 v1, v23, v25
	ds_store_2addr_stride64_b32 v58, v0, v1 offset0:56 offset1:58
	global_wb scope:SCOPE_SE
	s_wait_dscnt 0x0
	s_barrier_signal -1
	s_barrier_wait -1
	global_inv scope:SCOPE_SE
	ds_load_2addr_stride64_b32 v[34:35], v58 offset0:36 offset1:38
	ds_load_2addr_stride64_b32 v[32:33], v58 offset0:48 offset1:50
	;; [unrolled: 1-line block ×4, first 2 shown]
	ds_load_2addr_stride64_b32 v[36:37], v58 offset1:2
	ds_load_2addr_stride64_b32 v[24:25], v58 offset0:40 offset1:42
	ds_load_2addr_stride64_b32 v[22:23], v58 offset0:52 offset1:54
	;; [unrolled: 1-line block ×5, first 2 shown]
	s_wait_dscnt 0x9
	v_lshrrev_b32_e32 v192, 16, v34
	s_wait_dscnt 0x8
	v_sub_f16_e32 v0, v34, v32
	s_wait_dscnt 0x6
	v_sub_f16_e32 v1, v40, v38
	v_lshrrev_b32_e32 v203, 16, v40
	v_lshrrev_b32_e32 v191, 16, v38
	;; [unrolled: 1-line block ×3, first 2 shown]
	s_wait_dscnt 0x5
	v_lshrrev_b32_e32 v255, 16, v36
	v_add_f16_e32 v0, v1, v0
	v_add_f16_e32 v1, v38, v32
	v_sub_f16_e64 v253, v203, v192
	v_sub_f16_e64 v247, v191, v189
	;; [unrolled: 1-line block ×4, first 2 shown]
	v_fma_f16 v4, -0.5, v1, v36
	v_sub_f16_e64 v1, v192, v189
	s_wait_dscnt 0x1
	v_lshrrev_b32_e32 v196, 16, v31
	v_lshrrev_b32_e32 v197, 16, v25
	;; [unrolled: 1-line block ×3, first 2 shown]
	v_fma_f16 v245, 0x3b9c, v253, v4
	v_fmac_f16_e64 v4, 0xbb9c, v253
	v_lshrrev_b32_e32 v201, 16, v23
	v_sub_f16_e64 v234, v196, v197
	s_wait_dscnt 0x0
	v_lshrrev_b32_e32 v3, 16, v27
	v_fmac_f16_e64 v245, 0xb8b4, v247
	v_fmac_f16_e64 v4, 0x38b4, v247
	v_sub_f16_e64 v232, v200, v201
	v_sub_f16_e64 v194, v31, v25
	;; [unrolled: 1-line block ×3, first 2 shown]
	v_fmac_f16_e64 v245, 0x34f2, v0
	v_fmac_f16_e32 v4, 0x34f2, v0
	v_add_f16_e64 v0, v203, v192
	v_sub_f16_e64 v188, v29, v23
	s_delay_alu instid0(VALU_DEP_2) | instskip(SKIP_1) | instid1(VALU_DEP_1)
	v_fma_f16 v250, -0.5, v0, v255
	v_add_f16_e64 v0, v191, v189
	v_fmac_f16_e64 v255, -0.5, v0
	v_sub_f16_e64 v0, v203, v191
	s_delay_alu instid0(VALU_DEP_2) | instskip(SKIP_1) | instid1(VALU_DEP_3)
	v_fma_f16 v237, 0xbb9c, v242, v255
	v_fmac_f16_e64 v255, 0x3b9c, v242
	v_add_f16_e32 v0, v0, v1
	v_sub_f16_e32 v1, v31, v29
	s_delay_alu instid0(VALU_DEP_4) | instskip(NEXT) | instid1(VALU_DEP_4)
	v_fmac_f16_e64 v237, 0x38b4, v240
	v_fmac_f16_e64 v255, 0xb8b4, v240
	s_delay_alu instid0(VALU_DEP_2) | instskip(NEXT) | instid1(VALU_DEP_2)
	v_fmac_f16_e64 v237, 0x34f2, v0
	v_fmac_f16_e64 v255, 0x34f2, v0
	v_sub_f16_e32 v0, v25, v23
	s_delay_alu instid0(VALU_DEP_1) | instskip(SKIP_1) | instid1(VALU_DEP_1)
	v_add_f16_e32 v0, v1, v0
	v_add_f16_e32 v1, v29, v23
	v_fma_f16 v1, -0.5, v1, v27
	s_delay_alu instid0(VALU_DEP_1) | instskip(SKIP_1) | instid1(VALU_DEP_2)
	v_fma_f16 v2, 0x3b9c, v234, v1
	v_fmac_f16_e64 v1, 0xbb9c, v234
	v_fmac_f16_e64 v2, 0xb8b4, v232
	s_delay_alu instid0(VALU_DEP_2) | instskip(NEXT) | instid1(VALU_DEP_2)
	v_fmac_f16_e64 v1, 0x38b4, v232
	v_fmac_f16_e32 v2, 0x34f2, v0
	s_delay_alu instid0(VALU_DEP_2) | instskip(SKIP_1) | instid1(VALU_DEP_1)
	v_fmac_f16_e32 v1, 0x34f2, v0
	v_add_f16_e64 v0, v196, v197
	v_fma_f16 v227, -0.5, v0, v3
	v_add_f16_e64 v0, v200, v201
	s_delay_alu instid0(VALU_DEP_1) | instskip(SKIP_1) | instid1(VALU_DEP_2)
	v_fmac_f16_e32 v3, -0.5, v0
	v_sub_f16_e64 v0, v196, v200
	v_fma_f16 v193, 0xbb9c, v194, v3
	v_fmac_f16_e64 v3, 0x3b9c, v194
	s_delay_alu instid0(VALU_DEP_3) | instskip(NEXT) | instid1(VALU_DEP_3)
	v_add_f16_e64 v0, v0, v187
	v_fmac_f16_e64 v193, 0x38b4, v188
	s_delay_alu instid0(VALU_DEP_3) | instskip(NEXT) | instid1(VALU_DEP_2)
	v_fmac_f16_e64 v3, 0xb8b4, v188
	v_fmac_f16_e64 v193, 0x34f2, v0
	s_delay_alu instid0(VALU_DEP_2) | instskip(NEXT) | instid1(VALU_DEP_2)
	v_fmac_f16_e32 v3, 0x34f2, v0
	v_mul_f16_e64 v198, 0xbb9c, v193
	s_delay_alu instid0(VALU_DEP_2)
	v_mul_f16_e64 v190, 0xbb9c, v3
	v_mul_f16_e64 v187, 0xb4f2, v3
	;; [unrolled: 1-line block ×3, first 2 shown]
	v_sub_f16_e64 v193, v29, v31
	v_fmac_f16_e64 v198, 0x34f2, v2
	v_fmac_f16_e64 v190, 0xb4f2, v1
	;; [unrolled: 1-line block ×4, first 2 shown]
	s_delay_alu instid0(VALU_DEP_3) | instskip(NEXT) | instid1(VALU_DEP_3)
	v_add_f16_e64 v0, v4, v190
	v_add_f16_e64 v1, v255, v187
	s_delay_alu instid0(VALU_DEP_1) | instskip(SKIP_2) | instid1(VALU_DEP_1)
	v_pack_b32_f16 v3, v0, v1
	v_add_f16_e64 v0, v245, v198
	v_add_f16_e64 v1, v237, v199
	v_pack_b32_f16 v2, v0, v1
	v_sub_f16_e64 v0, v191, v203
	v_sub_f16_e64 v1, v189, v192
	;; [unrolled: 1-line block ×5, first 2 shown]
	s_delay_alu instid0(VALU_DEP_4) | instskip(SKIP_1) | instid1(VALU_DEP_4)
	v_add_f16_e32 v0, v0, v1
	v_sub_f16_e64 v1, v200, v196
	v_add_f16_e64 v189, v191, v189
	v_sub_f16_e64 v191, v201, v197
	v_add_f16_e64 v193, v193, v192
	s_delay_alu instid0(VALU_DEP_2) | instskip(SKIP_1) | instid1(VALU_DEP_1)
	v_add_f16_e64 v1, v1, v191
	v_add_f16_e64 v191, v31, v25
	v_fma_f16 v196, -0.5, v191, v27
	v_fma_f16 v191, 0x3b9c, v188, v227
	v_fmac_f16_e64 v227, 0xbb9c, v188
	v_pk_add_f16 v27, v27, v29
	v_lshrrev_b32_e32 v29, 16, v41
	v_fma_f16 v192, 0xbb9c, v232, v196
	v_fmac_f16_e64 v191, 0x38b4, v194
	v_fmac_f16_e64 v196, 0x3b9c, v232
	;; [unrolled: 1-line block ×3, first 2 shown]
	v_pk_add_f16 v27, v27, v31
	v_fmac_f16_e64 v192, 0xb8b4, v234
	v_fmac_f16_e64 v191, 0x34f2, v1
	;; [unrolled: 1-line block ×4, first 2 shown]
	v_pk_add_f16 v25, v27, v25
	v_fmac_f16_e64 v192, 0x34f2, v193
	v_mul_f16_e64 v197, 0xb8b4, v191
	v_fmac_f16_e64 v196, 0x34f2, v193
	v_mul_f16_e64 v232, 0xb8b4, v227
	v_mul_f16_e64 v227, 0xba79, v227
	;; [unrolled: 1-line block ×3, first 2 shown]
	v_fmac_f16_e64 v197, 0x3a79, v192
	v_sub_f16_e64 v192, v237, v199
	v_fma_f16 v199, 0x3b9c, v240, v250
	v_fmac_f16_e64 v250, 0xbb9c, v240
	v_fmac_f16_e64 v200, 0x3a79, v191
	v_sub_f16_e64 v191, v245, v198
	v_add_f16_e64 v198, v40, v34
	v_fmac_f16_e64 v199, 0x38b4, v242
	v_fmac_f16_e64 v250, 0xb8b4, v242
	;; [unrolled: 1-line block ×4, first 2 shown]
	v_fma_f16 v203, -0.5, v198, v36
	v_fmac_f16_e64 v199, 0x34f2, v0
	v_fmac_f16_e64 v250, 0x34f2, v0
	v_pk_add_f16 v0, v36, v38
	v_pk_add_f16 v23, v25, v23
	v_fma_f16 v198, 0xbb9c, v247, v203
	v_fmac_f16_e64 v203, 0x3b9c, v247
	v_add_f16_e64 v1, v199, v200
	v_pk_add_f16 v0, v0, v40
	v_pack_b32_f16 v192, v191, v192
	v_fmac_f16_e64 v198, 0xb8b4, v253
	v_fmac_f16_e64 v203, 0x38b4, v253
	v_sub_f16_e64 v201, v199, v200
	v_pk_add_f16 v0, v0, v34
	v_sub_f16_e32 v25, v35, v33
	v_fmac_f16_e64 v198, 0x34f2, v189
	v_fmac_f16_e64 v203, 0x34f2, v189
	v_sub_f16_e32 v27, v41, v35
	v_pk_add_f16 v0, v0, v32
	v_lshrrev_b32_e32 v34, 16, v39
	v_add_f16_e64 v188, v198, v197
	v_sub_f16_e64 v191, v198, v197
	v_sub_f16_e32 v36, v39, v33
	v_pk_add_f16 v31, v0, v23
	v_pk_add_f16 v189, v0, v23 neg_lo:[0,1] neg_hi:[0,1]
	v_pack_b32_f16 v32, v188, v1
	v_add_f16_e64 v0, v203, v232
	v_add_f16_e64 v1, v250, v227
	v_pack_b32_f16 v191, v191, v201
	v_sub_f16_e64 v23, v255, v187
	s_delay_alu instid0(VALU_DEP_3)
	v_pack_b32_f16 v188, v0, v1
	ds_load_2addr_stride64_b32 v[196:197], v58 offset0:8 offset1:10
	ds_load_2addr_stride64_b32 v[198:199], v58 offset0:20 offset1:22
	ds_load_2addr_stride64_b32 v[200:201], v58 offset0:32 offset1:34
	ds_load_2addr_stride64_b32 v[193:194], v58 offset0:44 offset1:46
	ds_load_2addr_stride64_b32 v[0:1], v58 offset0:56 offset1:58
	global_wb scope:SCOPE_SE
	s_wait_dscnt 0x0
	s_barrier_signal -1
	s_barrier_wait -1
	global_inv scope:SCOPE_SE
	ds_store_2addr_b64 v105, v[31:32], v[2:3] offset1:1
	ds_store_2addr_b64 v105, v[188:189], v[191:192] offset0:2 offset1:3
	v_sub_f16_e64 v2, v4, v190
	v_sub_f16_e64 v3, v203, v232
	;; [unrolled: 1-line block ×3, first 2 shown]
	v_sub_f16_e32 v32, v41, v39
	v_sub_f16_e32 v31, v39, v41
	v_pack_b32_f16 v2, v2, v23
	v_sub_f16_e32 v23, v33, v35
	v_pack_b32_f16 v3, v3, v4
	v_lshrrev_b32_e32 v4, 16, v35
	v_lshrrev_b32_e32 v227, 16, v196
	v_lshrrev_b32_e32 v191, 16, v198
	ds_store_b64 v105, v[2:3] offset:32
	v_pk_add_f16 v2, v37, v39
	v_add_f16_e32 v3, v41, v35
	v_lshrrev_b32_e32 v187, 16, v200
	v_lshrrev_b32_e32 v188, 16, v193
	;; [unrolled: 1-line block ×3, first 2 shown]
	v_pk_add_f16 v2, v2, v41
	v_fma_f16 v40, -0.5, v3, v37
	v_sub_f16_e64 v240, v198, v0
	v_sub_f16_e64 v189, v187, v188
	;; [unrolled: 1-line block ×3, first 2 shown]
	v_pk_add_f16 v2, v2, v35
	v_add_f16_e32 v35, v39, v33
	v_sub_f16_e64 v234, v188, v192
	v_add_f16_e32 v23, v31, v23
	v_sub_f16_e64 v31, v192, v188
	v_pk_add_f16 v38, v2, v33
	v_lshrrev_b32_e32 v33, 16, v33
	v_add_f16_e32 v2, v32, v25
	v_fma_f16 v25, -0.5, v35, v37
	v_sub_f16_e32 v35, v29, v4
	v_lshrrev_b32_e32 v37, 16, v37
	v_sub_f16_e32 v39, v34, v33
	v_sub_f16_e32 v3, v4, v33
	s_delay_alu instid0(VALU_DEP_4) | instskip(SKIP_1) | instid1(VALU_DEP_2)
	v_fmamk_f16 v32, v35, 0x3b9c, v25
	v_fmac_f16_e32 v25, 0xbb9c, v35
	v_fmac_f16_e32 v32, 0xb8b4, v39
	s_delay_alu instid0(VALU_DEP_2) | instskip(NEXT) | instid1(VALU_DEP_2)
	v_fmac_f16_e32 v25, 0x38b4, v39
	v_fmac_f16_e32 v32, 0x34f2, v2
	s_delay_alu instid0(VALU_DEP_2) | instskip(SKIP_2) | instid1(VALU_DEP_2)
	v_fmac_f16_e32 v25, 0x34f2, v2
	v_add_f16_e32 v2, v29, v4
	v_sub_f16_e32 v4, v33, v4
	v_fma_f16 v41, -0.5, v2, v37
	v_add_f16_e32 v2, v34, v33
	v_sub_f16_e64 v33, v0, v193
	s_delay_alu instid0(VALU_DEP_2) | instskip(SKIP_3) | instid1(VALU_DEP_4)
	v_fmac_f16_e32 v37, -0.5, v2
	v_sub_f16_e32 v2, v29, v34
	v_sub_f16_e32 v29, v34, v29
	v_sub_f16_e64 v34, v198, v200
	v_fmamk_f16 v105, v27, 0xbb9c, v37
	v_fmac_f16_e32 v37, 0x3b9c, v27
	v_add_f16_e32 v2, v2, v3
	v_sub_f16_e64 v3, v200, v198
	v_add_f16_e32 v4, v29, v4
	v_fmac_f16_e32 v105, 0x38b4, v36
	v_fmac_f16_e32 v37, 0xb8b4, v36
	v_sub_f16_e64 v29, v191, v187
	v_add_f16_e32 v33, v34, v33
	s_delay_alu instid0(VALU_DEP_4) | instskip(NEXT) | instid1(VALU_DEP_4)
	v_fmac_f16_e32 v105, 0x34f2, v2
	v_fmac_f16_e32 v37, 0x34f2, v2
	v_sub_f16_e64 v2, v193, v0
	v_add_f16_e32 v29, v29, v31
	v_add_f16_e64 v31, v200, v193
	s_delay_alu instid0(VALU_DEP_3) | instskip(SKIP_1) | instid1(VALU_DEP_3)
	v_add_f16_e32 v2, v3, v2
	v_add_f16_e64 v3, v198, v0
	v_fma_f16 v34, -0.5, v31, v196
	s_delay_alu instid0(VALU_DEP_2) | instskip(NEXT) | instid1(VALU_DEP_1)
	v_fma_f16 v3, -0.5, v3, v196
	v_fma_f16 v190, 0x3b9c, v189, v3
	v_fmac_f16_e64 v3, 0xbb9c, v189
	s_delay_alu instid0(VALU_DEP_2) | instskip(NEXT) | instid1(VALU_DEP_2)
	v_fmac_f16_e64 v190, 0xb8b4, v203
	v_fmac_f16_e64 v3, 0x38b4, v203
	s_delay_alu instid0(VALU_DEP_2) | instskip(NEXT) | instid1(VALU_DEP_2)
	v_fmac_f16_e64 v190, 0x34f2, v2
	v_fmac_f16_e32 v3, 0x34f2, v2
	v_add_f16_e64 v2, v187, v188
	s_delay_alu instid0(VALU_DEP_1) | instskip(SKIP_1) | instid1(VALU_DEP_2)
	v_fma_f16 v232, -0.5, v2, v227
	v_add_f16_e64 v2, v191, v192
	v_fma_f16 v31, 0x3b9c, v240, v232
	s_delay_alu instid0(VALU_DEP_2) | instskip(SKIP_4) | instid1(VALU_DEP_4)
	v_fmac_f16_e64 v227, -0.5, v2
	v_sub_f16_e64 v2, v187, v191
	v_fma_f16 v187, 0xbb9c, v203, v34
	v_fmac_f16_e64 v232, 0xbb9c, v240
	v_fmac_f16_e64 v34, 0x3b9c, v203
	v_add_f16_e64 v2, v2, v234
	v_sub_f16_e64 v234, v200, v193
	v_fmac_f16_e64 v187, 0xb8b4, v189
	s_delay_alu instid0(VALU_DEP_4) | instskip(SKIP_1) | instid1(VALU_DEP_4)
	v_fmac_f16_e64 v34, 0x38b4, v189
	v_sub_f16_e64 v189, v199, v1
	v_fma_f16 v237, 0xbb9c, v234, v227
	v_fmac_f16_e64 v227, 0x3b9c, v234
	v_fmac_f16_e64 v31, 0x38b4, v234
	;; [unrolled: 1-line block ×6, first 2 shown]
	v_fmac_f16_e32 v31, 0x34f2, v29
	v_fmac_f16_e32 v34, 0x34f2, v33
	v_fmac_f16_e64 v232, 0x34f2, v29
	v_fmac_f16_e64 v237, 0x34f2, v2
	v_fmac_f16_e64 v227, 0x34f2, v2
	v_mul_f16_e64 v188, 0xb8b4, v31
	v_pk_add_f16 v29, v196, v198
	s_delay_alu instid0(VALU_DEP_4) | instskip(NEXT) | instid1(VALU_DEP_4)
	v_mul_f16_e64 v245, 0xbb9c, v237
	v_mul_f16_e64 v242, 0xbb9c, v227
	;; [unrolled: 1-line block ×4, first 2 shown]
	v_fmac_f16_e64 v188, 0x3a79, v187
	v_fmac_f16_e64 v245, 0x34f2, v190
	v_fmac_f16_e64 v242, 0xb4f2, v3
	v_fmac_f16_e64 v227, 0x3b9c, v3
	v_fmac_f16_e64 v237, 0x3b9c, v190
	v_mul_f16_e64 v187, 0x38b4, v187
	v_pk_add_f16 v29, v29, v200
	v_add_f16_e64 v2, v25, v242
	v_add_f16_e64 v3, v37, v227
	;; [unrolled: 1-line block ×3, first 2 shown]
	v_fmac_f16_e64 v187, 0x3a79, v31
	v_sub_f16_e64 v31, v32, v245
	v_pk_add_f16 v29, v29, v193
	v_pack_b32_f16 v3, v2, v3
	v_add_f16_e64 v2, v32, v245
	v_sub_f16_e64 v32, v105, v237
	v_fmamk_f16 v105, v39, 0xbb9c, v40
	v_fmac_f16_e32 v40, 0x3b9c, v39
	v_pk_add_f16 v0, v29, v0
	v_pack_b32_f16 v2, v2, v190
	v_fma_f16 v190, 0x3b9c, v36, v41
	v_fmac_f16_e32 v41, 0xbb9c, v36
	v_fmac_f16_e32 v105, 0xb8b4, v35
	;; [unrolled: 1-line block ×3, first 2 shown]
	v_pack_b32_f16 v32, v31, v32
	v_fmac_f16_e64 v190, 0x38b4, v27
	v_fmac_f16_e32 v41, 0xb8b4, v27
	v_fmac_f16_e32 v105, 0x34f2, v23
	v_fmac_f16_e32 v40, 0x34f2, v23
	v_mul_f16_e64 v23, 0xba79, v232
	v_fmac_f16_e64 v190, 0x34f2, v4
	v_fmac_f16_e32 v41, 0x34f2, v4
	v_mul_f16_e64 v4, 0xb8b4, v232
	v_add_f16_e64 v36, v105, v188
	v_fmac_f16_e32 v23, 0x38b4, v34
	v_add_f16_e64 v27, v190, v187
	v_sub_f16_e64 v31, v105, v188
	v_fmac_f16_e32 v4, 0xba79, v34
	v_sub_f16_e64 v191, v190, v187
	v_pk_add_f16 v33, v38, v0
	v_pack_b32_f16 v34, v36, v27
	v_pk_add_f16 v36, v38, v0 neg_lo:[0,1] neg_hi:[0,1]
	v_add_f16_e32 v0, v40, v4
	v_add_f16_e32 v27, v41, v23
	v_pack_b32_f16 v31, v31, v191
	v_sub_f16_e32 v29, v30, v28
	v_sub_f16_e64 v39, v194, v1
	v_add_f16_e64 v188, v199, v1
	v_pack_b32_f16 v35, v0, v27
	ds_store_2addr_b64 v106, v[33:34], v[2:3] offset1:1
	ds_store_2addr_b64 v106, v[35:36], v[31:32] offset0:2 offset1:3
	v_sub_f16_e64 v0, v25, v242
	v_sub_f16_e32 v2, v40, v4
	v_sub_f16_e32 v3, v41, v23
	v_sub_f16_e64 v4, v37, v227
	v_sub_f16_e32 v23, v24, v22
	v_lshrrev_b32_e32 v25, 16, v30
	v_add_f16_e32 v31, v28, v22
	v_pack_b32_f16 v3, v2, v3
	v_pack_b32_f16 v2, v0, v4
	v_pk_add_f16 v0, v26, v28
	v_sub_f16_e32 v4, v22, v24
	v_sub_f16_e32 v27, v28, v30
	v_lshrrev_b32_e32 v37, 16, v194
	ds_store_b64 v106, v[2:3] offset:32
	v_pk_add_f16 v0, v0, v30
	v_lshrrev_b32_e32 v3, 16, v24
	v_add_f16_e32 v2, v30, v24
	v_lshrrev_b32_e32 v41, 16, v201
	v_sub_f16_e64 v106, v201, v199
	v_pk_add_f16 v0, v0, v24
	v_sub_f16_e32 v24, v30, v24
	v_lshrrev_b32_e32 v30, 16, v28
	v_sub_f16_e32 v28, v28, v22
	v_fma_f16 v34, -0.5, v2, v26
	v_pk_add_f16 v32, v0, v22
	v_lshrrev_b32_e32 v22, 16, v22
	v_add_f16_e32 v0, v29, v23
	v_fma_f16 v29, -0.5, v31, v26
	v_sub_f16_e32 v23, v25, v3
	v_lshrrev_b32_e32 v26, 16, v26
	v_sub_f16_e32 v33, v30, v22
	v_sub_f16_e32 v2, v3, v22
	v_sub_f16_e64 v38, v1, v194
	v_fmamk_f16 v31, v23, 0x3b9c, v29
	v_fmac_f16_e32 v29, 0xbb9c, v23
	v_lshrrev_b32_e32 v187, 16, v199
	v_lshrrev_b32_e32 v191, 16, v1
	v_add_f16_e64 v192, v41, v37
	v_fmac_f16_e32 v31, 0xb8b4, v33
	v_fmac_f16_e32 v29, 0x38b4, v33
	v_add_f16_e64 v36, v201, v194
	v_add_f16_e64 v193, v187, v191
	v_sub_f16_e64 v40, v201, v194
	v_fmac_f16_e32 v31, 0x34f2, v0
	v_fmac_f16_e32 v29, 0x34f2, v0
	v_add_f16_e32 v0, v25, v3
	v_sub_f16_e32 v3, v22, v3
	v_fma_f16 v36, -0.5, v36, v197
	v_sub_f16_e64 v105, v199, v201
	v_add_f16_e32 v4, v27, v4
	v_fma_f16 v35, -0.5, v0, v26
	v_add_f16_e32 v0, v30, v22
	v_sub_f16_e64 v22, v187, v41
	v_add_f16_e32 v27, v105, v38
	s_delay_alu instid0(VALU_DEP_4) | instskip(NEXT) | instid1(VALU_DEP_4)
	v_fmamk_f16 v38, v28, 0x3b9c, v35
	v_fmac_f16_e32 v26, -0.5, v0
	v_sub_f16_e32 v0, v25, v30
	v_sub_f16_e32 v25, v30, v25
	v_sub_f16_e64 v30, v191, v37
	v_fmac_f16_e32 v38, 0x38b4, v24
	v_fmac_f16_e32 v35, 0xbb9c, v28
	v_add_f16_e32 v0, v0, v2
	v_fmamk_f16 v2, v24, 0xbb9c, v26
	v_fmac_f16_e32 v26, 0x3b9c, v24
	v_add_f16_e32 v25, v25, v3
	v_add_f16_e32 v22, v22, v30
	v_fmac_f16_e32 v35, 0xb8b4, v24
	v_fmac_f16_e32 v2, 0x38b4, v28
	;; [unrolled: 1-line block ×4, first 2 shown]
	s_delay_alu instid0(VALU_DEP_4) | instskip(NEXT) | instid1(VALU_DEP_4)
	v_fmac_f16_e32 v35, 0x34f2, v25
	v_fmac_f16_e32 v2, 0x34f2, v0
	s_delay_alu instid0(VALU_DEP_4) | instskip(SKIP_1) | instid1(VALU_DEP_1)
	v_fmac_f16_e32 v26, 0x34f2, v0
	v_pk_add_f16 v0, v197, v199
	v_pk_add_f16 v0, v0, v201
	s_delay_alu instid0(VALU_DEP_1) | instskip(SKIP_1) | instid1(VALU_DEP_2)
	v_pk_add_f16 v0, v0, v194
	v_sub_f16_e64 v194, v37, v191
	v_pk_add_f16 v190, v0, v1
	v_add_f16_e32 v0, v106, v39
	v_fma_f16 v1, -0.5, v188, v197
	v_sub_f16_e32 v39, v41, v37
	v_sub_f16_e64 v188, v187, v191
	v_pk_add_f16 v25, v32, v190 neg_lo:[0,1] neg_hi:[0,1]
	s_delay_alu instid0(VALU_DEP_3) | instskip(SKIP_1) | instid1(VALU_DEP_4)
	v_fmamk_f16 v106, v39, 0x3b9c, v1
	v_fmac_f16_e32 v1, 0xbb9c, v39
	v_fma_f16 v30, 0xbb9c, v188, v36
	v_fmac_f16_e64 v36, 0x3b9c, v188
	s_delay_alu instid0(VALU_DEP_4) | instskip(NEXT) | instid1(VALU_DEP_4)
	v_fmac_f16_e64 v106, 0xb8b4, v188
	v_fmac_f16_e64 v1, 0x38b4, v188
	s_delay_alu instid0(VALU_DEP_4) | instskip(NEXT) | instid1(VALU_DEP_4)
	v_fmac_f16_e32 v30, 0xb8b4, v39
	v_fmac_f16_e32 v36, 0x38b4, v39
	s_delay_alu instid0(VALU_DEP_4) | instskip(NEXT) | instid1(VALU_DEP_4)
	v_fmac_f16_e32 v106, 0x34f2, v0
	v_fmac_f16_e32 v1, 0x34f2, v0
	v_lshrrev_b32_e32 v0, 16, v197
	v_fmac_f16_e32 v30, 0x34f2, v27
	v_fmac_f16_e32 v36, 0x34f2, v27
	s_delay_alu instid0(VALU_DEP_3) | instskip(SKIP_2) | instid1(VALU_DEP_3)
	v_fma_f16 v192, -0.5, v192, v0
	v_fmac_f16_e64 v0, -0.5, v193
	v_sub_f16_e64 v193, v41, v187
	v_fma_f16 v3, 0x3b9c, v189, v192
	v_fmac_f16_e64 v192, 0xbb9c, v189
	s_delay_alu instid0(VALU_DEP_3) | instskip(SKIP_4) | instid1(VALU_DEP_4)
	v_add_f16_e64 v193, v193, v194
	v_fma_f16 v194, 0xbb9c, v40, v0
	v_fmac_f16_e32 v0, 0x3b9c, v40
	v_fmac_f16_e32 v3, 0x38b4, v40
	v_fmac_f16_e64 v192, 0xb8b4, v40
	v_fmac_f16_e64 v194, 0x38b4, v189
	s_delay_alu instid0(VALU_DEP_4) | instskip(NEXT) | instid1(VALU_DEP_4)
	v_fmac_f16_e64 v0, 0xb8b4, v189
	v_fmac_f16_e32 v3, 0x34f2, v22
	s_delay_alu instid0(VALU_DEP_4) | instskip(NEXT) | instid1(VALU_DEP_4)
	v_fmac_f16_e64 v192, 0x34f2, v22
	v_fmac_f16_e64 v194, 0x34f2, v193
	s_delay_alu instid0(VALU_DEP_4) | instskip(NEXT) | instid1(VALU_DEP_4)
	v_fmac_f16_e64 v0, 0x34f2, v193
	v_mul_f16_e32 v37, 0xb8b4, v3
	s_delay_alu instid0(VALU_DEP_4) | instskip(NEXT) | instid1(VALU_DEP_4)
	v_mul_f16_e64 v27, 0xba79, v192
	v_mul_f16_e64 v197, 0xbb9c, v194
	s_delay_alu instid0(VALU_DEP_4)
	v_mul_f16_e64 v193, 0xbb9c, v0
	v_mul_f16_e64 v196, 0xb4f2, v0
	v_fmac_f16_e32 v37, 0x3a79, v30
	v_mul_f16_e32 v30, 0x38b4, v30
	v_fmac_f16_e64 v197, 0x34f2, v106
	v_fmac_f16_e64 v193, 0xb4f2, v1
	;; [unrolled: 1-line block ×3, first 2 shown]
	v_mul_f16_e64 v194, 0x34f2, v194
	v_fmac_f16_e32 v30, 0x3a79, v3
	v_sub_f16_e64 v3, v31, v197
	v_add_f16_e64 v0, v29, v193
	v_add_f16_e64 v1, v26, v196
	v_fmac_f16_e64 v194, 0x3b9c, v106
	v_add_f16_e32 v22, v38, v30
	v_fmac_f16_e32 v27, 0x38b4, v36
	v_sub_f16_e32 v41, v38, v30
	v_pack_b32_f16 v1, v0, v1
	v_add_f16_e64 v0, v31, v197
	v_fmamk_f16 v31, v33, 0xbb9c, v34
	v_fmac_f16_e32 v34, 0x3b9c, v33
	v_add_f16_e64 v106, v2, v194
	v_sub_f16_e64 v2, v2, v194
	s_delay_alu instid0(VALU_DEP_4) | instskip(NEXT) | instid1(VALU_DEP_4)
	v_fmac_f16_e32 v31, 0xb8b4, v23
	v_fmac_f16_e32 v34, 0x38b4, v23
	s_delay_alu instid0(VALU_DEP_4) | instskip(NEXT) | instid1(VALU_DEP_4)
	v_pack_b32_f16 v0, v0, v106
	v_pack_b32_f16 v3, v3, v2
	s_delay_alu instid0(VALU_DEP_4) | instskip(NEXT) | instid1(VALU_DEP_4)
	v_fmac_f16_e32 v31, 0x34f2, v4
	v_fmac_f16_e32 v34, 0x34f2, v4
	v_mul_f16_e64 v4, 0xb8b4, v192
	s_delay_alu instid0(VALU_DEP_3) | instskip(SKIP_1) | instid1(VALU_DEP_3)
	v_add_f16_e32 v28, v31, v37
	v_sub_f16_e32 v2, v31, v37
	v_fmac_f16_e32 v4, 0xba79, v36
	s_delay_alu instid0(VALU_DEP_3) | instskip(SKIP_1) | instid1(VALU_DEP_3)
	v_pack_b32_f16 v23, v28, v22
	v_add_f16_e32 v28, v35, v27
	v_add_f16_e32 v24, v34, v4
	v_pk_add_f16 v22, v32, v190
	v_pack_b32_f16 v2, v2, v41
	s_delay_alu instid0(VALU_DEP_3)
	v_pack_b32_f16 v24, v24, v28
	ds_store_2addr_b64 v107, v[22:23], v[0:1] offset1:1
	ds_store_2addr_b64 v107, v[24:25], v[2:3] offset0:2 offset1:3
	v_sub_f16_e64 v0, v29, v193
	v_sub_f16_e32 v1, v34, v4
	v_sub_f16_e32 v2, v35, v27
	v_sub_f16_e64 v3, v26, v196
	v_lshrrev_b32_e32 v4, 16, v6
	v_lshrrev_b32_e32 v25, 16, v7
	;; [unrolled: 1-line block ×3, first 2 shown]
	v_pack_b32_f16 v1, v1, v2
	v_pack_b32_f16 v0, v0, v3
	v_lshrrev_b32_e32 v2, 16, v5
	ds_store_b64 v107, v[0:1] offset:32
	global_wb scope:SCOPE_SE
	s_wait_dscnt 0x0
	s_barrier_signal -1
	s_barrier_wait -1
	global_inv scope:SCOPE_SE
	ds_load_2addr_stride64_b32 v[22:23], v58 offset0:8 offset1:10
	ds_load_2addr_stride64_b32 v[38:39], v58 offset0:48 offset1:50
	s_wait_dscnt 0x1
	v_lshrrev_b32_e32 v0, 16, v23
	v_mul_f16_e32 v1, v2, v23
	s_delay_alu instid0(VALU_DEP_2) | instskip(NEXT) | instid1(VALU_DEP_2)
	v_mul_f16_e32 v29, v2, v0
	v_fma_f16 v31, v5, v0, -v1
	ds_load_2addr_stride64_b32 v[0:1], v58 offset0:20 offset1:22
	v_fmac_f16_e32 v29, v5, v23
	v_lshrrev_b32_e32 v23, 16, v9
	s_wait_dscnt 0x0
	v_lshrrev_b32_e32 v2, 16, v0
	v_mul_f16_e32 v3, v4, v0
	s_delay_alu instid0(VALU_DEP_2) | instskip(NEXT) | instid1(VALU_DEP_2)
	v_mul_f16_e32 v40, v4, v2
	v_fma_f16 v41, v6, v2, -v3
	ds_load_2addr_stride64_b32 v[2:3], v58 offset0:28 offset1:30
	v_fmac_f16_e32 v40, v6, v0
	v_lshrrev_b32_e32 v0, 16, v10
	s_wait_dscnt 0x0
	v_lshrrev_b32_e32 v4, 16, v3
	v_mul_f16_e32 v24, v25, v3
	s_delay_alu instid0(VALU_DEP_2)
	v_mul_f16_e32 v105, v25, v4
	ds_load_2addr_stride64_b32 v[25:26], v58 offset0:40 offset1:42
	v_fma_f16 v106, v7, v4, -v24
	v_fmac_f16_e32 v105, v7, v3
	v_lshrrev_b32_e32 v3, 16, v1
	s_wait_dscnt 0x0
	v_lshrrev_b32_e32 v4, 16, v25
	v_mul_f16_e32 v24, v27, v25
	v_lshrrev_b32_e32 v5, 16, v26
	s_delay_alu instid0(VALU_DEP_3) | instskip(NEXT) | instid1(VALU_DEP_3)
	v_mul_f16_e32 v107, v27, v4
	v_fma_f16 v187, v8, v4, -v24
	v_mul_f16_e32 v4, v0, v1
	s_delay_alu instid0(VALU_DEP_3) | instskip(SKIP_2) | instid1(VALU_DEP_4)
	v_fmac_f16_e32 v107, v8, v25
	v_mul_f16_e32 v25, v0, v3
	v_lshrrev_b32_e32 v0, 16, v12
	v_fma_f16 v35, v10, v3, -v4
	ds_load_2addr_stride64_b32 v[3:4], v58 offset0:32 offset1:34
	v_fmac_f16_e32 v25, v10, v1
	v_mul_f16_e32 v32, v0, v5
	v_mul_f16_e32 v6, v0, v26
	ds_load_2addr_stride64_b32 v[0:1], v58 offset0:12 offset1:14
	v_lshrrev_b32_e32 v10, 16, v11
	v_fmac_f16_e32 v32, v12, v26
	v_fma_f16 v37, v12, v5, -v6
	v_lshrrev_b32_e32 v5, 16, v19
	s_wait_dscnt 0x0
	v_lshrrev_b32_e32 v7, 16, v0
	v_mul_f16_e32 v8, v23, v0
	s_delay_alu instid0(VALU_DEP_2) | instskip(NEXT) | instid1(VALU_DEP_2)
	v_mul_f16_e32 v26, v23, v7
	v_fma_f16 v28, v9, v7, -v8
	v_lshrrev_b32_e32 v7, 16, v3
	v_mul_f16_e32 v8, v10, v3
	s_delay_alu instid0(VALU_DEP_4) | instskip(SKIP_1) | instid1(VALU_DEP_4)
	v_fmac_f16_e32 v26, v9, v0
	v_lshrrev_b32_e32 v0, 16, v1
	v_mul_f16_e64 v188, v10, v7
	s_delay_alu instid0(VALU_DEP_4) | instskip(SKIP_2) | instid1(VALU_DEP_4)
	v_fma_f16 v189, v11, v7, -v8
	v_lshrrev_b32_e32 v7, 16, v18
	v_lshrrev_b32_e32 v8, 16, v13
	v_fmac_f16_e64 v188, v11, v3
	v_lshrrev_b32_e32 v3, 16, v17
	s_delay_alu instid0(VALU_DEP_1) | instskip(NEXT) | instid1(VALU_DEP_1)
	v_mul_f16_e32 v12, v3, v0
	v_fmac_f16_e32 v12, v17, v1
	v_mul_f16_e32 v1, v3, v1
	v_lshrrev_b32_e32 v3, 16, v4
	s_delay_alu instid0(VALU_DEP_2) | instskip(NEXT) | instid1(VALU_DEP_2)
	v_fma_f16 v23, v17, v0, -v1
	v_mul_f16_e32 v24, v5, v3
	ds_load_2addr_stride64_b32 v[0:1], v58 offset0:24 offset1:26
	v_fmac_f16_e32 v24, v19, v4
	v_mul_f16_e32 v4, v5, v4
	s_delay_alu instid0(VALU_DEP_1) | instskip(SKIP_4) | instid1(VALU_DEP_2)
	v_fma_f16 v27, v19, v3, -v4
	ds_load_2addr_stride64_b32 v[3:4], v58 offset0:44 offset1:46
	s_wait_dscnt 0x1
	v_lshrrev_b32_e32 v5, 16, v0
	v_mul_f16_e32 v6, v7, v0
	v_mul_f16_e32 v30, v7, v5
	s_delay_alu instid0(VALU_DEP_2) | instskip(SKIP_1) | instid1(VALU_DEP_3)
	v_fma_f16 v33, v18, v5, -v6
	v_lshrrev_b32_e32 v7, 16, v20
	v_fmac_f16_e32 v30, v18, v0
	s_wait_dscnt 0x0
	v_lshrrev_b32_e32 v5, 16, v3
	s_delay_alu instid0(VALU_DEP_3) | instskip(SKIP_2) | instid1(VALU_DEP_4)
	v_mul_f16_e32 v6, v7, v3
	v_lshrrev_b32_e32 v0, 16, v14
	v_lshrrev_b32_e32 v18, 16, v15
	v_mul_f16_e32 v34, v7, v5
	s_delay_alu instid0(VALU_DEP_4) | instskip(NEXT) | instid1(VALU_DEP_4)
	v_fma_f16 v36, v20, v5, -v6
	v_mul_f16_e32 v5, v0, v1
	v_lshrrev_b32_e32 v6, 16, v4
	s_delay_alu instid0(VALU_DEP_4) | instskip(SKIP_1) | instid1(VALU_DEP_1)
	v_fmac_f16_e32 v34, v20, v3
	v_lshrrev_b32_e32 v3, 16, v1
	v_mul_f16_e32 v7, v0, v3
	v_lshrrev_b32_e32 v0, 16, v16
	s_delay_alu instid0(VALU_DEP_2) | instskip(NEXT) | instid1(VALU_DEP_2)
	v_fmac_f16_e32 v7, v14, v1
	v_mul_f16_e32 v17, v0, v6
	v_mul_f16_e32 v9, v0, v4
	ds_load_2addr_stride64_b32 v[0:1], v58 offset0:16 offset1:18
	v_fma_f16 v14, v14, v3, -v5
	v_fmac_f16_e32 v17, v16, v4
	v_fma_f16 v16, v16, v6, -v9
	v_lshrrev_b32_e32 v9, 16, v2
	v_lshrrev_b32_e32 v6, 16, v167
	s_wait_dscnt 0x0
	v_lshrrev_b32_e32 v4, 16, v0
	v_mul_f16_e32 v10, v8, v0
	s_delay_alu instid0(VALU_DEP_2) | instskip(NEXT) | instid1(VALU_DEP_2)
	v_mul_f16_e32 v8, v8, v4
	v_fma_f16 v11, v13, v4, -v10
	ds_load_2addr_stride64_b32 v[3:4], v58 offset0:36 offset1:38
	v_fmac_f16_e32 v8, v13, v0
	v_lshrrev_b32_e32 v13, 16, v168
	s_wait_dscnt 0x0
	v_lshrrev_b32_e32 v5, 16, v3
	v_mul_f16_e32 v10, v18, v3
	s_delay_alu instid0(VALU_DEP_2) | instskip(NEXT) | instid1(VALU_DEP_2)
	v_mul_f16_e32 v19, v18, v5
	v_fma_f16 v18, v15, v5, -v10
	v_lshrrev_b32_e32 v5, 16, v166
	v_lshrrev_b32_e32 v10, 16, v4
	s_delay_alu instid0(VALU_DEP_4) | instskip(SKIP_2) | instid1(VALU_DEP_2)
	v_fmac_f16_e32 v19, v15, v3
	v_lshrrev_b32_e32 v3, 16, v1
	v_lshrrev_b32_e32 v15, 16, v117
	v_mul_f16_e32 v0, v5, v3
	s_delay_alu instid0(VALU_DEP_1) | instskip(SKIP_2) | instid1(VALU_DEP_2)
	v_fmac_f16_e64 v0, v166, v1
	v_mul_f16_e32 v1, v5, v1
	v_mul_f16_e32 v5, v6, v9
	v_fma_f16 v1, v166, v3, -v1
	s_delay_alu instid0(VALU_DEP_2)
	v_fmac_f16_e64 v5, v167, v2
	v_mul_f16_e32 v2, v6, v2
	v_mul_f16_e32 v6, v13, v10
	v_lshrrev_b32_e32 v3, 16, v169
	v_mul_f16_e32 v13, v13, v4
	v_add_f16_e64 v166, v31, v106
	v_fma_f16 v2, v167, v9, -v2
	v_fmac_f16_e64 v6, v168, v4
	v_lshrrev_b32_e32 v4, 16, v38
	v_mul_f16_e32 v9, v3, v38
	v_fma_f16 v10, v168, v10, -v13
	v_sub_f16_e64 v168, v41, v187
	s_delay_alu instid0(VALU_DEP_4) | instskip(NEXT) | instid1(VALU_DEP_4)
	v_mul_f16_e32 v3, v3, v4
	v_fma_f16 v9, v169, v4, -v9
	v_lshrrev_b32_e32 v4, 16, v39
	s_delay_alu instid0(VALU_DEP_3) | instskip(NEXT) | instid1(VALU_DEP_2)
	v_fmac_f16_e64 v3, v169, v38
	v_mul_f16_e32 v13, v15, v4
	v_mul_f16_e32 v15, v15, v39
	s_delay_alu instid0(VALU_DEP_2)
	v_fmac_f16_e32 v13, v117, v39
	ds_load_2addr_stride64_b32 v[38:39], v58 offset1:2
	v_fma_f16 v4, v117, v4, -v15
	v_add_f16_e64 v117, v41, v187
	v_add_f16_e64 v167, v105, v13
	v_sub_f16_e64 v169, v105, v13
	s_wait_dscnt 0x0
	v_lshrrev_b32_e32 v15, 16, v38
	s_delay_alu instid0(VALU_DEP_1) | instskip(SKIP_2) | instid1(VALU_DEP_3)
	v_add_f16_e32 v20, v15, v41
	v_add_f16_e32 v41, v38, v40
	v_fmac_f16_e32 v15, -0.5, v117
	v_add_f16_e64 v20, v20, v187
	s_delay_alu instid0(VALU_DEP_3)
	v_add_f16_e32 v117, v41, v107
	v_add_f16_e32 v41, v40, v107
	v_sub_f16_e32 v107, v40, v107
	v_add_f16_e32 v40, v106, v4
	v_sub_f16_e64 v187, v106, v4
	v_add_f16_e64 v4, v166, v4
	v_fma_f16 v38, -0.5, v41, v38
	v_fma_f16 v194, 0x3aee, v107, v15
	v_fmac_f16_e32 v31, -0.5, v40
	v_add_f16_e32 v40, v29, v105
	v_fmac_f16_e64 v29, -0.5, v167
	v_fmac_f16_e32 v15, 0xbaee, v107
	v_add_f16_e32 v105, v20, v4
	v_fma_f16 v193, 0xbaee, v168, v38
	v_add_f16_e32 v13, v40, v13
	v_fma_f16 v40, 0x3aee, v169, v31
	v_fmac_f16_e64 v31, 0xbaee, v169
	v_fmac_f16_e64 v38, 0x3aee, v168
	v_sub_f16_e32 v4, v20, v4
	s_delay_alu instid0(VALU_DEP_4)
	v_mul_f16_e64 v190, 0xbaee, v40
	v_mul_f16_e64 v191, 0.5, v40
	v_fma_f16 v40, 0xbaee, v187, v29
	v_fmac_f16_e64 v29, 0x3aee, v187
	v_mul_f16_e32 v107, 0xbaee, v31
	v_mul_f16_e32 v31, -0.5, v31
	s_delay_alu instid0(VALU_DEP_4)
	v_fmac_f16_e64 v190, 0.5, v40
	v_fmac_f16_e64 v191, 0x3aee, v40
	v_add_f16_e32 v40, v117, v13
	v_fmac_f16_e32 v107, -0.5, v29
	v_fmac_f16_e32 v31, 0x3aee, v29
	v_sub_f16_e32 v13, v117, v13
	v_add_f16_e64 v41, v194, v191
	v_pack_b32_f16 v192, v40, v105
	v_add_f16_e64 v40, v193, v190
	v_add_f16_e32 v20, v38, v107
	v_add_f16_e32 v29, v15, v31
	v_pack_b32_f16 v4, v13, v4
	v_sub_f16_e32 v13, v38, v107
	v_pack_b32_f16 v196, v40, v41
	ds_load_2addr_stride64_b32 v[40:41], v58 offset0:52 offset1:54
	ds_load_2addr_stride64_b32 v[105:106], v58 offset0:4 offset1:6
	;; [unrolled: 1-line block ×3, first 2 shown]
	v_pack_b32_f16 v20, v20, v29
	global_wb scope:SCOPE_SE
	s_wait_dscnt 0x0
	s_barrier_signal -1
	s_barrier_wait -1
	global_inv scope:SCOPE_SE
	ds_store_2addr_b32 v116, v20, v4 offset0:20 offset1:30
	v_sub_f16_e64 v4, v193, v190
	v_sub_f16_e64 v20, v194, v191
	v_sub_f16_e32 v15, v15, v31
	v_add_f16_e32 v29, v39, v25
	v_add_f16_e64 v38, v26, v188
	ds_store_2addr_b32 v116, v192, v196 offset1:10
	v_pack_b32_f16 v4, v4, v20
	v_pack_b32_f16 v13, v13, v15
	v_lshrrev_b32_e32 v15, 16, v109
	v_lshrrev_b32_e32 v20, 16, v39
	v_add_f16_e32 v29, v29, v32
	ds_store_2addr_b32 v116, v4, v13 offset0:40 offset1:50
	v_lshrrev_b32_e32 v4, 16, v40
	v_mul_f16_e32 v13, v15, v40
	s_delay_alu instid0(VALU_DEP_2) | instskip(NEXT) | instid1(VALU_DEP_2)
	v_mul_f16_e32 v15, v15, v4
	v_fma_f16 v4, v109, v4, -v13
	v_add_f16_e32 v13, v25, v32
	v_sub_f16_e32 v25, v25, v32
	s_delay_alu instid0(VALU_DEP_4) | instskip(SKIP_1) | instid1(VALU_DEP_4)
	v_fmac_f16_e32 v15, v109, v40
	v_add_f16_e64 v40, v28, v189
	v_fmac_f16_e32 v39, -0.5, v13
	v_sub_f16_e32 v13, v35, v37
	s_delay_alu instid0(VALU_DEP_1) | instskip(SKIP_2) | instid1(VALU_DEP_1)
	v_fmamk_f16 v31, v13, 0xbaee, v39
	v_fmac_f16_e32 v39, 0x3aee, v13
	v_add_f16_e64 v13, v188, v15
	v_fmac_f16_e32 v26, -0.5, v13
	v_add_f16_e64 v13, v189, v4
	s_delay_alu instid0(VALU_DEP_1) | instskip(SKIP_2) | instid1(VALU_DEP_2)
	v_fmac_f16_e32 v28, -0.5, v13
	v_sub_f16_e64 v13, v188, v15
	v_add_f16_e32 v15, v38, v15
	v_fmamk_f16 v107, v13, 0x3aee, v28
	v_fmac_f16_e32 v28, 0xbaee, v13
	v_sub_f16_e64 v13, v189, v4
	v_add_f16_e32 v4, v40, v4
	v_add_f16_e32 v38, v29, v15
	v_mul_f16_e32 v32, 0xbaee, v107
	v_sub_f16_e32 v15, v29, v15
	v_fmamk_f16 v109, v13, 0xbaee, v26
	v_fmac_f16_e32 v26, 0x3aee, v13
	v_mul_f16_e32 v13, 0xbaee, v28
	v_sub_f16_e32 v29, v30, v34
	s_delay_alu instid0(VALU_DEP_4) | instskip(NEXT) | instid1(VALU_DEP_3)
	v_fmac_f16_e32 v32, 0.5, v109
	v_fmac_f16_e32 v13, -0.5, v26
	s_delay_alu instid0(VALU_DEP_2) | instskip(NEXT) | instid1(VALU_DEP_2)
	v_add_f16_e32 v40, v31, v32
	v_add_f16_e32 v116, v39, v13
	v_sub_f16_e32 v13, v39, v13
	v_add_f16_e32 v39, v20, v35
	v_add_f16_e32 v35, v35, v37
	s_delay_alu instid0(VALU_DEP_2) | instskip(NEXT) | instid1(VALU_DEP_2)
	v_add_f16_e32 v37, v39, v37
	v_fmac_f16_e32 v20, -0.5, v35
	v_mul_f16_e32 v35, 0.5, v107
	s_delay_alu instid0(VALU_DEP_3) | instskip(SKIP_1) | instid1(VALU_DEP_3)
	v_add_f16_e32 v39, v37, v4
	v_sub_f16_e32 v4, v37, v4
	v_fmac_f16_e32 v35, 0x3aee, v109
	s_delay_alu instid0(VALU_DEP_3)
	v_pack_b32_f16 v38, v38, v39
	v_fmamk_f16 v39, v25, 0x3aee, v20
	v_fmac_f16_e32 v20, 0xbaee, v25
	v_mul_f16_e32 v25, -0.5, v28
	v_pack_b32_f16 v4, v15, v4
	v_add_f16_e32 v28, v30, v34
	v_sub_f16_e32 v15, v39, v35
	v_add_f16_e32 v107, v39, v35
	v_fmac_f16_e32 v25, 0x3aee, v26
	s_delay_alu instid0(VALU_DEP_4) | instskip(NEXT) | instid1(VALU_DEP_3)
	v_fma_f16 v28, -0.5, v28, v105
	v_pack_b32_f16 v40, v40, v107
	s_delay_alu instid0(VALU_DEP_3)
	v_add_f16_e32 v26, v20, v25
	v_sub_f16_e32 v20, v20, v25
	v_add_f16_e32 v25, v33, v36
	ds_store_2addr_b32 v118, v38, v40 offset1:10
	v_pack_b32_f16 v26, v116, v26
	v_pack_b32_f16 v13, v13, v20
	ds_store_2addr_b32 v118, v26, v4 offset0:20 offset1:30
	v_sub_f16_e32 v4, v31, v32
	v_add_f16_e32 v31, v23, v27
	v_sub_f16_e32 v26, v33, v36
	s_delay_alu instid0(VALU_DEP_3) | instskip(SKIP_3) | instid1(VALU_DEP_1)
	v_pack_b32_f16 v4, v4, v15
	v_lshrrev_b32_e32 v15, 16, v113
	ds_store_2addr_b32 v118, v4, v13 offset0:40 offset1:50
	v_lshrrev_b32_e32 v4, 16, v41
	v_mul_f16_e32 v13, v15, v4
	v_mul_f16_e32 v15, v15, v41
	s_delay_alu instid0(VALU_DEP_2) | instskip(NEXT) | instid1(VALU_DEP_2)
	v_fmac_f16_e32 v13, v113, v41
	v_fma_f16 v4, v113, v4, -v15
	v_lshrrev_b32_e32 v15, 16, v105
	s_delay_alu instid0(VALU_DEP_3) | instskip(NEXT) | instid1(VALU_DEP_2)
	v_add_f16_e32 v32, v24, v13
	v_add_f16_e32 v20, v15, v33
	v_fmac_f16_e32 v15, -0.5, v25
	v_add_f16_e32 v25, v105, v30
	v_add_f16_e32 v30, v27, v4
	v_sub_f16_e32 v27, v27, v4
	v_add_f16_e32 v20, v20, v36
	v_add_f16_e32 v4, v31, v4
	v_add_f16_e32 v25, v25, v34
	v_fmac_f16_e32 v23, -0.5, v30
	v_add_f16_e32 v30, v12, v24
	v_sub_f16_e32 v24, v24, v13
	v_fmac_f16_e32 v12, -0.5, v32
	v_add_f16_e32 v33, v20, v4
	v_fmamk_f16 v34, v29, 0x3aee, v15
	v_add_f16_e32 v13, v30, v13
	v_fmamk_f16 v30, v24, 0x3aee, v23
	v_fmamk_f16 v32, v27, 0xbaee, v12
	v_fmac_f16_e32 v23, 0xbaee, v24
	v_fmac_f16_e32 v12, 0x3aee, v27
	;; [unrolled: 1-line block ×3, first 2 shown]
	v_mul_f16_e32 v31, 0xbaee, v30
	v_mul_f16_e32 v30, 0.5, v30
	v_mul_f16_e32 v24, 0xbaee, v23
	v_mul_f16_e32 v23, -0.5, v23
	v_sub_f16_e32 v4, v20, v4
	v_fmac_f16_e32 v31, 0.5, v32
	v_fmac_f16_e32 v30, 0x3aee, v32
	v_add_f16_e32 v32, v25, v13
	v_fmac_f16_e32 v24, -0.5, v12
	v_fmac_f16_e32 v23, 0x3aee, v12
	v_sub_f16_e32 v12, v25, v13
	v_add_f16_e32 v25, v11, v18
	v_pack_b32_f16 v32, v32, v33
	v_fmamk_f16 v33, v26, 0xbaee, v28
	v_fmac_f16_e32 v28, 0x3aee, v26
	v_add_f16_e32 v20, v15, v23
	v_pack_b32_f16 v4, v12, v4
	v_sub_f16_e32 v15, v15, v23
	v_add_f16_e32 v35, v33, v31
	v_add_f16_e32 v13, v28, v24
	v_sub_f16_e32 v12, v28, v24
	v_add_f16_e32 v24, v8, v19
	v_add_f16_e32 v36, v34, v30
	s_delay_alu instid0(VALU_DEP_4) | instskip(NEXT) | instid1(VALU_DEP_4)
	v_pack_b32_f16 v13, v13, v20
	v_pack_b32_f16 v12, v12, v15
	v_lshrrev_b32_e32 v15, 16, v106
	v_add_f16_e32 v20, v106, v7
	v_pack_b32_f16 v35, v35, v36
	ds_store_2addr_b32 v122, v13, v4 offset0:20 offset1:30
	v_sub_f16_e32 v4, v33, v31
	v_sub_f16_e32 v13, v34, v30
	v_add_f16_e32 v27, v15, v14
	ds_store_2addr_b32 v122, v32, v35 offset1:10
	v_add_nc_u32_e32 v34, 0x400, v58
	v_pack_b32_f16 v4, v4, v13
	v_lshrrev_b32_e32 v13, 16, v112
	ds_store_2addr_b32 v122, v4, v12 offset0:40 offset1:50
	v_lshrrev_b32_e32 v4, 16, v166
	v_mul_f16_e64 v12, v13, v166
	s_delay_alu instid0(VALU_DEP_2) | instskip(NEXT) | instid1(VALU_DEP_2)
	v_mul_f16_e32 v13, v13, v4
	v_fma_f16 v4, v112, v4, -v12
	v_add_f16_e32 v12, v7, v17
	v_sub_f16_e32 v7, v7, v17
	s_delay_alu instid0(VALU_DEP_4) | instskip(NEXT) | instid1(VALU_DEP_3)
	v_fmac_f16_e64 v13, v112, v166
	v_fmac_f16_e32 v106, -0.5, v12
	v_sub_f16_e32 v12, v14, v16
	v_add_f16_e32 v14, v14, v16
	v_add_f16_e32 v16, v27, v16
	s_delay_alu instid0(VALU_DEP_3) | instskip(SKIP_4) | instid1(VALU_DEP_3)
	v_fmamk_f16 v23, v12, 0xbaee, v106
	v_fmac_f16_e32 v106, 0x3aee, v12
	v_add_f16_e32 v12, v19, v13
	v_fmac_f16_e32 v15, -0.5, v14
	v_add_f16_e32 v14, v20, v17
	v_fmac_f16_e32 v8, -0.5, v12
	v_add_f16_e32 v12, v18, v4
	s_delay_alu instid0(VALU_DEP_1) | instskip(SKIP_2) | instid1(VALU_DEP_2)
	v_fmac_f16_e32 v11, -0.5, v12
	v_sub_f16_e32 v12, v19, v13
	v_add_f16_e32 v13, v24, v13
	v_fmamk_f16 v19, v12, 0x3aee, v11
	v_fmac_f16_e32 v11, 0xbaee, v12
	v_sub_f16_e32 v12, v18, v4
	v_add_f16_e32 v4, v25, v4
	s_delay_alu instid0(VALU_DEP_4) | instskip(SKIP_1) | instid1(VALU_DEP_4)
	v_mul_f16_e32 v17, 0xbaee, v19
	v_mul_f16_e32 v19, 0.5, v19
	v_fmamk_f16 v18, v12, 0xbaee, v8
	s_delay_alu instid0(VALU_DEP_4)
	v_add_f16_e32 v20, v16, v4
	v_fmac_f16_e32 v8, 0x3aee, v12
	v_mul_f16_e32 v12, 0xbaee, v11
	v_sub_f16_e32 v4, v16, v4
	v_fmac_f16_e32 v17, 0.5, v18
	v_fmac_f16_e32 v19, 0x3aee, v18
	v_add_f16_e32 v18, v14, v13
	v_fmac_f16_e32 v12, -0.5, v8
	s_delay_alu instid0(VALU_DEP_4) | instskip(NEXT) | instid1(VALU_DEP_3)
	v_add_f16_e32 v24, v23, v17
	v_pack_b32_f16 v18, v18, v20
	v_fmamk_f16 v20, v7, 0x3aee, v15
	v_fmac_f16_e32 v15, 0xbaee, v7
	v_mul_f16_e32 v7, -0.5, v11
	v_add_f16_e32 v26, v106, v12
	v_sub_f16_e32 v12, v106, v12
	v_add_f16_e32 v25, v20, v19
	s_delay_alu instid0(VALU_DEP_4) | instskip(SKIP_2) | instid1(VALU_DEP_4)
	v_fmac_f16_e32 v7, 0x3aee, v8
	v_sub_f16_e32 v8, v14, v13
	v_add_f16_e32 v14, v0, v6
	v_pack_b32_f16 v24, v24, v25
	s_delay_alu instid0(VALU_DEP_4) | instskip(NEXT) | instid1(VALU_DEP_4)
	v_add_f16_e32 v11, v15, v7
	v_pack_b32_f16 v4, v8, v4
	v_sub_f16_e32 v8, v20, v19
	v_sub_f16_e32 v7, v15, v7
	v_add_f16_e32 v15, v1, v10
	v_pack_b32_f16 v11, v26, v11
	ds_store_2addr_b32 v124, v18, v24 offset1:10
	v_pack_b32_f16 v7, v12, v7
	v_add_f16_e32 v12, v22, v5
	ds_store_2addr_b32 v124, v11, v4 offset0:20 offset1:30
	v_sub_f16_e32 v4, v23, v17
	v_lshrrev_b32_e32 v11, 16, v22
	s_delay_alu instid0(VALU_DEP_2) | instskip(SKIP_1) | instid1(VALU_DEP_3)
	v_pack_b32_f16 v4, v4, v8
	v_lshrrev_b32_e32 v8, 16, v103
	v_add_f16_e32 v17, v11, v2
	ds_store_2addr_b32 v124, v4, v7 offset0:40 offset1:50
	v_lshrrev_b32_e32 v4, 16, v167
	s_delay_alu instid0(VALU_DEP_1) | instskip(SKIP_1) | instid1(VALU_DEP_2)
	v_mul_f16_e32 v7, v8, v4
	v_mul_f16_e64 v8, v8, v167
	v_fmac_f16_e64 v7, v103, v167
	s_delay_alu instid0(VALU_DEP_2) | instskip(SKIP_1) | instid1(VALU_DEP_1)
	v_fma_f16 v4, v103, v4, -v8
	v_add_f16_e32 v8, v5, v3
	v_fmac_f16_e32 v22, -0.5, v8
	v_sub_f16_e32 v8, v2, v9
	v_add_f16_e32 v2, v2, v9
	v_add_f16_e32 v9, v17, v9
	s_delay_alu instid0(VALU_DEP_3)
	v_fmamk_f16 v13, v8, 0xbaee, v22
	v_fmac_f16_e32 v22, 0x3aee, v8
	v_add_f16_e32 v8, v6, v7
	v_sub_f16_e32 v6, v6, v7
	v_fmac_f16_e32 v11, -0.5, v2
	v_add_f16_e32 v2, v12, v3
	v_sub_f16_e32 v3, v5, v3
	v_fmac_f16_e32 v0, -0.5, v8
	v_add_f16_e32 v8, v10, v4
	v_add_f16_e32 v5, v14, v7
	s_delay_alu instid0(VALU_DEP_2) | instskip(NEXT) | instid1(VALU_DEP_1)
	v_fmac_f16_e32 v1, -0.5, v8
	v_fmamk_f16 v8, v6, 0x3aee, v1
	v_fmac_f16_e32 v1, 0xbaee, v6
	v_sub_f16_e32 v6, v10, v4
	v_add_f16_e32 v4, v15, v4
	s_delay_alu instid0(VALU_DEP_4) | instskip(SKIP_1) | instid1(VALU_DEP_4)
	v_mul_f16_e32 v7, 0xbaee, v8
	v_mul_f16_e32 v8, 0.5, v8
	v_fmamk_f16 v10, v6, 0xbaee, v0
	v_fmac_f16_e32 v0, 0x3aee, v6
	v_mul_f16_e32 v6, 0xbaee, v1
	v_add_f16_e32 v12, v9, v4
	v_mul_f16_e32 v1, -0.5, v1
	v_fmac_f16_e32 v7, 0.5, v10
	v_fmac_f16_e32 v8, 0x3aee, v10
	v_add_f16_e32 v10, v2, v5
	v_fmac_f16_e32 v6, -0.5, v0
	v_fmac_f16_e32 v1, 0x3aee, v0
	v_sub_f16_e32 v0, v2, v5
	v_sub_f16_e32 v2, v9, v4
	v_pack_b32_f16 v10, v10, v12
	v_fmamk_f16 v12, v3, 0x3aee, v11
	v_fmac_f16_e32 v11, 0xbaee, v3
	v_add_f16_e32 v16, v22, v6
	v_pack_b32_f16 v0, v0, v2
	v_sub_f16_e32 v6, v22, v6
	v_add_f16_e32 v14, v13, v7
	v_add_f16_e32 v3, v11, v1
	;; [unrolled: 1-line block ×3, first 2 shown]
	v_sub_f16_e32 v2, v12, v8
	v_sub_f16_e32 v1, v11, v1
	v_lshrrev_b32_e32 v4, 16, v156
	v_pack_b32_f16 v3, v16, v3
	v_pack_b32_f16 v14, v14, v15
	s_delay_alu instid0(VALU_DEP_4)
	v_pack_b32_f16 v1, v6, v1
	ds_store_2addr_b32 v123, v3, v0 offset0:20 offset1:30
	v_sub_f16_e32 v0, v13, v7
	ds_store_2addr_b32 v123, v10, v14 offset1:10
	v_pack_b32_f16 v0, v0, v2
	ds_store_2addr_b32 v123, v0, v1 offset0:40 offset1:50
	global_wb scope:SCOPE_SE
	s_wait_dscnt 0x0
	s_barrier_signal -1
	s_barrier_wait -1
	global_inv scope:SCOPE_SE
	ds_load_2addr_stride64_b32 v[0:1], v58 offset0:28 offset1:30
	s_wait_dscnt 0x0
	v_lshrrev_b32_e32 v2, 16, v1
	v_mul_f16_e32 v3, v4, v1
	s_delay_alu instid0(VALU_DEP_2) | instskip(NEXT) | instid1(VALU_DEP_2)
	v_mul_f16_e32 v4, v4, v2
	v_fma_f16 v3, v156, v2, -v3
	s_delay_alu instid0(VALU_DEP_2) | instskip(SKIP_4) | instid1(VALU_DEP_2)
	v_fmac_f16_e64 v4, v156, v1
	ds_load_2addr_stride64_b32 v[1:2], v58 offset1:2
	s_wait_dscnt 0x0
	v_lshrrev_b32_e32 v5, 16, v1
	v_sub_f16_e32 v4, v1, v4
	v_sub_f16_e32 v3, v5, v3
	s_delay_alu instid0(VALU_DEP_2) | instskip(NEXT) | instid1(VALU_DEP_2)
	v_fma_f16 v1, v1, 2.0, -v4
	v_fma_f16 v5, v5, 2.0, -v3
	v_pack_b32_f16 v30, v4, v3
	s_delay_alu instid0(VALU_DEP_2)
	v_pack_b32_f16 v1, v1, v5
	ds_load_2addr_stride64_b32 v[3:4], v58 offset0:32 offset1:34
	ds_load_2addr_stride64_b32 v[5:6], v58 offset0:4 offset1:6
	;; [unrolled: 1-line block ×13, first 2 shown]
	global_wb scope:SCOPE_SE
	s_wait_dscnt 0x0
	s_barrier_signal -1
	s_barrier_wait -1
	global_inv scope:SCOPE_SE
	scratch_load_b32 v31, off, off offset:200 th:TH_LOAD_LU ; 4-byte Folded Reload
	s_wait_loadcnt 0x0
	ds_store_2addr_b32 v31, v1, v30 offset1:60
	v_lshrrev_b32_e32 v1, 16, v3
	v_lshrrev_b32_e32 v31, 16, v154
	s_delay_alu instid0(VALU_DEP_1) | instskip(NEXT) | instid1(VALU_DEP_3)
	v_mul_f16_e32 v30, v31, v3
	v_mul_f16_e32 v31, v31, v1
	s_delay_alu instid0(VALU_DEP_2) | instskip(NEXT) | instid1(VALU_DEP_2)
	v_fma_f16 v1, v154, v1, -v30
	v_fmac_f16_e64 v31, v154, v3
	v_lshrrev_b32_e32 v30, 16, v2
	s_delay_alu instid0(VALU_DEP_2) | instskip(NEXT) | instid1(VALU_DEP_2)
	v_sub_f16_e32 v3, v2, v31
	v_sub_f16_e32 v1, v30, v1
	s_delay_alu instid0(VALU_DEP_2) | instskip(NEXT) | instid1(VALU_DEP_2)
	v_fma_f16 v2, v2, 2.0, -v3
	v_fma_f16 v30, v30, 2.0, -v1
	v_pack_b32_f16 v1, v3, v1
	scratch_load_b32 v3, off, off offset:204 th:TH_LOAD_LU ; 4-byte Folded Reload
	v_pack_b32_f16 v2, v2, v30
	s_wait_loadcnt 0x0
	ds_store_2addr_b32 v3, v2, v1 offset1:60
	v_lshrrev_b32_e32 v1, 16, v4
	v_lshrrev_b32_e32 v3, 16, v153
	s_delay_alu instid0(VALU_DEP_1) | instskip(SKIP_1) | instid1(VALU_DEP_2)
	v_mul_f16_e32 v2, v3, v1
	v_mul_f16_e32 v3, v3, v4
	v_fmac_f16_e64 v2, v153, v4
	s_delay_alu instid0(VALU_DEP_2) | instskip(SKIP_1) | instid1(VALU_DEP_3)
	v_fma_f16 v1, v153, v1, -v3
	v_lshrrev_b32_e32 v3, 16, v5
	v_sub_f16_e32 v2, v5, v2
	s_delay_alu instid0(VALU_DEP_2) | instskip(NEXT) | instid1(VALU_DEP_2)
	v_sub_f16_e32 v1, v3, v1
	v_fma_f16 v4, v5, 2.0, -v2
	s_delay_alu instid0(VALU_DEP_2)
	v_fma_f16 v3, v3, 2.0, -v1
	v_pack_b32_f16 v1, v2, v1
	scratch_load_b32 v2, off, off offset:208 th:TH_LOAD_LU ; 4-byte Folded Reload
	v_pack_b32_f16 v3, v4, v3
	s_wait_loadcnt 0x0
	ds_store_2addr_b32 v2, v3, v1 offset1:60
	v_lshrrev_b32_e32 v1, 16, v7
	v_lshrrev_b32_e32 v3, 16, v151
	s_delay_alu instid0(VALU_DEP_1) | instskip(NEXT) | instid1(VALU_DEP_3)
	v_mul_f16_e32 v2, v3, v7
	v_mul_f16_e32 v3, v3, v1
	s_delay_alu instid0(VALU_DEP_2) | instskip(NEXT) | instid1(VALU_DEP_2)
	v_fma_f16 v1, v151, v1, -v2
	v_fmac_f16_e64 v3, v151, v7
	s_delay_alu instid0(VALU_DEP_1) | instskip(SKIP_1) | instid1(VALU_DEP_2)
	v_sub_f16_e32 v2, v6, v3
	v_lshrrev_b32_e32 v3, 16, v6
	v_fma_f16 v4, v6, 2.0, -v2
	s_delay_alu instid0(VALU_DEP_2) | instskip(NEXT) | instid1(VALU_DEP_1)
	v_sub_f16_e32 v1, v3, v1
	v_fma_f16 v3, v3, 2.0, -v1
	v_pack_b32_f16 v1, v2, v1
	scratch_load_b32 v2, off, off offset:212 th:TH_LOAD_LU ; 4-byte Folded Reload
	v_pack_b32_f16 v3, v4, v3
	s_wait_loadcnt 0x0
	ds_store_2addr_b32 v2, v3, v1 offset1:60
	v_lshrrev_b32_e32 v1, 16, v8
	v_lshrrev_b32_e32 v3, 16, v147
	s_delay_alu instid0(VALU_DEP_1) | instskip(SKIP_1) | instid1(VALU_DEP_2)
	v_mul_f16_e32 v2, v3, v1
	v_mul_f16_e32 v3, v3, v8
	v_fmac_f16_e64 v2, v147, v8
	s_delay_alu instid0(VALU_DEP_2) | instskip(SKIP_1) | instid1(VALU_DEP_3)
	v_fma_f16 v1, v147, v1, -v3
	v_lshrrev_b32_e32 v3, 16, v9
	v_sub_f16_e32 v2, v9, v2
	s_delay_alu instid0(VALU_DEP_2) | instskip(NEXT) | instid1(VALU_DEP_2)
	v_sub_f16_e32 v1, v3, v1
	v_fma_f16 v4, v9, 2.0, -v2
	s_delay_alu instid0(VALU_DEP_2)
	v_fma_f16 v3, v3, 2.0, -v1
	v_pack_b32_f16 v1, v2, v1
	scratch_load_b32 v2, off, off offset:216 th:TH_LOAD_LU ; 4-byte Folded Reload
	v_pack_b32_f16 v3, v4, v3
	s_wait_loadcnt 0x0
	ds_store_2addr_b32 v2, v3, v1 offset1:60
	v_lshrrev_b32_e32 v1, 16, v11
	v_lshrrev_b32_e32 v3, 16, v143
	s_delay_alu instid0(VALU_DEP_1) | instskip(NEXT) | instid1(VALU_DEP_3)
	v_mul_f16_e32 v2, v3, v11
	v_mul_f16_e32 v3, v3, v1
	s_delay_alu instid0(VALU_DEP_2) | instskip(NEXT) | instid1(VALU_DEP_2)
	v_fma_f16 v1, v143, v1, -v2
	v_fmac_f16_e64 v3, v143, v11
	s_delay_alu instid0(VALU_DEP_1) | instskip(SKIP_1) | instid1(VALU_DEP_2)
	v_sub_f16_e32 v2, v10, v3
	v_lshrrev_b32_e32 v3, 16, v10
	v_fma_f16 v4, v10, 2.0, -v2
	s_delay_alu instid0(VALU_DEP_2) | instskip(NEXT) | instid1(VALU_DEP_1)
	v_sub_f16_e32 v1, v3, v1
	;; [unrolled: 40-line block ×6, first 2 shown]
	v_fma_f16 v3, v3, 2.0, -v1
	v_pack_b32_f16 v1, v2, v1
	scratch_load_b32 v2, off, off offset:252 th:TH_LOAD_LU ; 4-byte Folded Reload
	v_pack_b32_f16 v3, v4, v3
	s_wait_loadcnt 0x0
	ds_store_2addr_b32 v2, v3, v1 offset1:60
	v_lshrrev_b32_e32 v1, 16, v29
	v_lshrrev_b32_e32 v3, 16, v133
	s_delay_alu instid0(VALU_DEP_1) | instskip(SKIP_1) | instid1(VALU_DEP_2)
	v_mul_f16_e32 v2, v3, v1
	v_mul_f16_e32 v3, v3, v29
	v_fmac_f16_e64 v2, v133, v29
	s_delay_alu instid0(VALU_DEP_2) | instskip(SKIP_1) | instid1(VALU_DEP_3)
	v_fma_f16 v1, v133, v1, -v3
	v_lshrrev_b32_e32 v3, 16, v0
	v_sub_f16_e32 v2, v0, v2
	s_delay_alu instid0(VALU_DEP_2) | instskip(NEXT) | instid1(VALU_DEP_2)
	v_sub_f16_e32 v1, v3, v1
	v_fma_f16 v0, v0, 2.0, -v2
	s_delay_alu instid0(VALU_DEP_2)
	v_fma_f16 v3, v3, 2.0, -v1
	v_pack_b32_f16 v1, v2, v1
	scratch_load_b32 v2, off, off offset:256 th:TH_LOAD_LU ; 4-byte Folded Reload
	v_pack_b32_f16 v0, v0, v3
	s_wait_loadcnt 0x0
	ds_store_2addr_b32 v2, v0, v1 offset1:60
	global_wb scope:SCOPE_SE
	s_wait_dscnt 0x0
	s_barrier_signal -1
	s_barrier_wait -1
	global_inv scope:SCOPE_SE
	ds_load_2addr_stride64_b32 v[0:1], v58 offset0:28 offset1:30
	s_wait_dscnt 0x0
	v_lshrrev_b32_e32 v2, 16, v1
	v_mul_f16_e64 v3, v183, v1
	s_delay_alu instid0(VALU_DEP_2) | instskip(NEXT) | instid1(VALU_DEP_2)
	v_mul_f16_e64 v4, v183, v2
	v_fma_f16 v3, v224, v2, -v3
	s_delay_alu instid0(VALU_DEP_2) | instskip(SKIP_4) | instid1(VALU_DEP_2)
	v_fmac_f16_e64 v4, v224, v1
	ds_load_2addr_stride64_b32 v[1:2], v58 offset1:2
	s_wait_dscnt 0x0
	v_lshrrev_b32_e32 v5, 16, v1
	v_sub_f16_e32 v4, v1, v4
	v_sub_f16_e32 v3, v5, v3
	s_delay_alu instid0(VALU_DEP_2) | instskip(NEXT) | instid1(VALU_DEP_2)
	v_fma_f16 v1, v1, 2.0, -v4
	v_fma_f16 v5, v5, 2.0, -v3
	v_pack_b32_f16 v30, v4, v3
	s_delay_alu instid0(VALU_DEP_2)
	v_pack_b32_f16 v1, v1, v5
	ds_load_2addr_stride64_b32 v[3:4], v58 offset0:32 offset1:34
	ds_load_2addr_stride64_b32 v[5:6], v58 offset0:4 offset1:6
	;; [unrolled: 1-line block ×13, first 2 shown]
	global_wb scope:SCOPE_SE
	s_wait_dscnt 0x0
	s_barrier_signal -1
	s_barrier_wait -1
	global_inv scope:SCOPE_SE
	scratch_load_b32 v31, off, off offset:260 th:TH_LOAD_LU ; 4-byte Folded Reload
	s_wait_loadcnt 0x0
	ds_store_2addr_b32 v31, v1, v30 offset1:120
	v_lshrrev_b32_e32 v1, 16, v3
	v_lshrrev_b32_e32 v31, 16, v213
	s_delay_alu instid0(VALU_DEP_1) | instskip(NEXT) | instid1(VALU_DEP_3)
	v_mul_f16_e32 v30, v31, v3
	v_mul_f16_e32 v31, v31, v1
	s_delay_alu instid0(VALU_DEP_2) | instskip(NEXT) | instid1(VALU_DEP_2)
	v_fma_f16 v1, v213, v1, -v30
	v_fmac_f16_e64 v31, v213, v3
	v_lshrrev_b32_e32 v30, 16, v2
	s_delay_alu instid0(VALU_DEP_2) | instskip(NEXT) | instid1(VALU_DEP_2)
	v_sub_f16_e32 v3, v2, v31
	v_sub_f16_e32 v1, v30, v1
	s_delay_alu instid0(VALU_DEP_2) | instskip(NEXT) | instid1(VALU_DEP_2)
	v_fma_f16 v2, v2, 2.0, -v3
	v_fma_f16 v30, v30, 2.0, -v1
	v_pack_b32_f16 v1, v3, v1
	scratch_load_b32 v3, off, off offset:264 th:TH_LOAD_LU ; 4-byte Folded Reload
	v_pack_b32_f16 v2, v2, v30
	s_wait_loadcnt 0x0
	ds_store_2addr_b32 v3, v2, v1 offset1:120
	v_lshrrev_b32_e32 v1, 16, v4
	v_mul_f16_e64 v3, v229, v4
	s_delay_alu instid0(VALU_DEP_2) | instskip(NEXT) | instid1(VALU_DEP_2)
	v_mul_f16_e64 v2, v229, v1
	v_fma_f16 v1, v215, v1, -v3
	v_lshrrev_b32_e32 v3, 16, v5
	s_delay_alu instid0(VALU_DEP_3) | instskip(NEXT) | instid1(VALU_DEP_2)
	v_fmac_f16_e64 v2, v215, v4
	v_sub_f16_e32 v1, v3, v1
	s_delay_alu instid0(VALU_DEP_2) | instskip(NEXT) | instid1(VALU_DEP_2)
	v_sub_f16_e32 v2, v5, v2
	v_fma_f16 v3, v3, 2.0, -v1
	s_delay_alu instid0(VALU_DEP_2)
	v_fma_f16 v4, v5, 2.0, -v2
	v_pack_b32_f16 v1, v2, v1
	scratch_load_b32 v2, off, off offset:268 th:TH_LOAD_LU ; 4-byte Folded Reload
	v_pack_b32_f16 v3, v4, v3
	s_wait_loadcnt 0x0
	ds_store_2addr_b32 v2, v3, v1 offset1:120
	v_lshrrev_b32_e32 v1, 16, v7
	v_mul_f16_e64 v2, v231, v7
	s_delay_alu instid0(VALU_DEP_2) | instskip(NEXT) | instid1(VALU_DEP_2)
	v_mul_f16_e64 v3, v231, v1
	v_fma_f16 v1, v217, v1, -v2
	s_delay_alu instid0(VALU_DEP_2) | instskip(NEXT) | instid1(VALU_DEP_1)
	v_fmac_f16_e64 v3, v217, v7
	v_sub_f16_e32 v2, v6, v3
	v_lshrrev_b32_e32 v3, 16, v6
	s_delay_alu instid0(VALU_DEP_2) | instskip(NEXT) | instid1(VALU_DEP_2)
	v_fma_f16 v4, v6, 2.0, -v2
	v_sub_f16_e32 v1, v3, v1
	s_delay_alu instid0(VALU_DEP_1)
	v_fma_f16 v3, v3, 2.0, -v1
	v_pack_b32_f16 v1, v2, v1
	scratch_load_b32 v2, off, off offset:272 th:TH_LOAD_LU ; 4-byte Folded Reload
	v_pack_b32_f16 v3, v4, v3
	s_wait_loadcnt 0x0
	ds_store_2addr_b32 v2, v3, v1 offset1:120
	v_lshrrev_b32_e32 v1, 16, v8
	v_mul_f16_e64 v3, v233, v8
	s_delay_alu instid0(VALU_DEP_2) | instskip(NEXT) | instid1(VALU_DEP_2)
	v_mul_f16_e64 v2, v233, v1
	v_fma_f16 v1, v212, v1, -v3
	v_lshrrev_b32_e32 v3, 16, v9
	s_delay_alu instid0(VALU_DEP_3) | instskip(NEXT) | instid1(VALU_DEP_2)
	v_fmac_f16_e64 v2, v212, v8
	v_sub_f16_e32 v1, v3, v1
	s_delay_alu instid0(VALU_DEP_2) | instskip(NEXT) | instid1(VALU_DEP_2)
	v_sub_f16_e32 v2, v9, v2
	v_fma_f16 v3, v3, 2.0, -v1
	s_delay_alu instid0(VALU_DEP_2)
	v_fma_f16 v4, v9, 2.0, -v2
	v_pack_b32_f16 v1, v2, v1
	scratch_load_b32 v2, off, off offset:276 th:TH_LOAD_LU ; 4-byte Folded Reload
	v_pack_b32_f16 v3, v4, v3
	s_wait_loadcnt 0x0
	ds_store_2addr_b32 v2, v3, v1 offset1:120
	v_lshrrev_b32_e32 v1, 16, v11
	v_mul_f16_e64 v2, v236, v11
	s_delay_alu instid0(VALU_DEP_2) | instskip(NEXT) | instid1(VALU_DEP_2)
	v_mul_f16_e64 v3, v236, v1
	v_fma_f16 v1, v210, v1, -v2
	s_delay_alu instid0(VALU_DEP_2) | instskip(NEXT) | instid1(VALU_DEP_1)
	v_fmac_f16_e64 v3, v210, v11
	v_sub_f16_e32 v2, v10, v3
	v_lshrrev_b32_e32 v3, 16, v10
	s_delay_alu instid0(VALU_DEP_2) | instskip(NEXT) | instid1(VALU_DEP_2)
	v_fma_f16 v4, v10, 2.0, -v2
	v_sub_f16_e32 v1, v3, v1
	s_delay_alu instid0(VALU_DEP_1)
	;; [unrolled: 38-line block ×6, first 2 shown]
	v_fma_f16 v3, v3, 2.0, -v1
	v_pack_b32_f16 v1, v2, v1
	scratch_load_b32 v2, off, off offset:312 th:TH_LOAD_LU ; 4-byte Folded Reload
	v_pack_b32_f16 v3, v4, v3
	s_wait_loadcnt 0x0
	ds_store_2addr_b32 v2, v3, v1 offset1:120
	v_lshrrev_b32_e32 v1, 16, v29
	v_mul_f16_e64 v3, v184, v29
	s_delay_alu instid0(VALU_DEP_2) | instskip(NEXT) | instid1(VALU_DEP_2)
	v_mul_f16_e64 v2, v184, v1
	v_fma_f16 v1, v202, v1, -v3
	v_lshrrev_b32_e32 v3, 16, v0
	s_delay_alu instid0(VALU_DEP_3) | instskip(NEXT) | instid1(VALU_DEP_2)
	v_fmac_f16_e64 v2, v202, v29
	v_sub_f16_e32 v1, v3, v1
	s_delay_alu instid0(VALU_DEP_2) | instskip(NEXT) | instid1(VALU_DEP_2)
	v_sub_f16_e32 v2, v0, v2
	v_fma_f16 v3, v3, 2.0, -v1
	s_delay_alu instid0(VALU_DEP_2)
	v_fma_f16 v0, v0, 2.0, -v2
	v_pack_b32_f16 v1, v2, v1
	scratch_load_b32 v2, off, off offset:316 th:TH_LOAD_LU ; 4-byte Folded Reload
	v_pack_b32_f16 v0, v0, v3
	s_wait_loadcnt 0x0
	ds_store_2addr_b32 v2, v0, v1 offset1:120
	global_wb scope:SCOPE_SE
	s_wait_dscnt 0x0
	s_barrier_signal -1
	s_barrier_wait -1
	global_inv scope:SCOPE_SE
	ds_load_2addr_stride64_b32 v[0:1], v58 offset0:28 offset1:30
	s_wait_dscnt 0x0
	v_lshrrev_b32_e32 v2, 16, v1
	v_mul_f16_e32 v3, v125, v1
	s_delay_alu instid0(VALU_DEP_2) | instskip(NEXT) | instid1(VALU_DEP_2)
	v_mul_f16_e32 v4, v125, v2
	v_fma_f16 v3, v50, v2, -v3
	s_delay_alu instid0(VALU_DEP_2) | instskip(SKIP_4) | instid1(VALU_DEP_2)
	v_fmac_f16_e32 v4, v50, v1
	ds_load_2addr_stride64_b32 v[1:2], v58 offset1:2
	s_wait_dscnt 0x0
	v_lshrrev_b32_e32 v5, 16, v1
	v_sub_f16_e32 v4, v1, v4
	v_sub_f16_e32 v3, v5, v3
	s_delay_alu instid0(VALU_DEP_2) | instskip(NEXT) | instid1(VALU_DEP_2)
	v_fma_f16 v1, v1, 2.0, -v4
	v_fma_f16 v5, v5, 2.0, -v3
	v_pack_b32_f16 v30, v4, v3
	s_delay_alu instid0(VALU_DEP_2)
	v_pack_b32_f16 v1, v1, v5
	ds_load_2addr_stride64_b32 v[3:4], v58 offset0:32 offset1:34
	ds_load_2addr_stride64_b32 v[5:6], v58 offset0:4 offset1:6
	;; [unrolled: 1-line block ×13, first 2 shown]
	global_wb scope:SCOPE_SE
	s_wait_dscnt 0x0
	s_barrier_signal -1
	s_barrier_wait -1
	global_inv scope:SCOPE_SE
	ds_store_2addr_b32 v58, v1, v30 offset1:240
	v_lshrrev_b32_e32 v1, 16, v3
	v_mul_f16_e64 v30, v164, v3
	s_delay_alu instid0(VALU_DEP_2) | instskip(NEXT) | instid1(VALU_DEP_2)
	v_mul_f16_e64 v31, v164, v1
	v_fma_f16 v1, v75, v1, -v30
	v_lshrrev_b32_e32 v30, 16, v2
	s_delay_alu instid0(VALU_DEP_3) | instskip(NEXT) | instid1(VALU_DEP_2)
	v_fmac_f16_e32 v31, v75, v3
	v_sub_f16_e32 v1, v30, v1
	s_delay_alu instid0(VALU_DEP_2) | instskip(NEXT) | instid1(VALU_DEP_2)
	v_sub_f16_e32 v3, v2, v31
	v_fma_f16 v30, v30, 2.0, -v1
	s_delay_alu instid0(VALU_DEP_2)
	v_fma_f16 v2, v2, 2.0, -v3
	v_pack_b32_f16 v1, v3, v1
	scratch_load_b32 v3, off, off offset:340 th:TH_LOAD_LU ; 4-byte Folded Reload
	v_pack_b32_f16 v2, v2, v30
	s_wait_loadcnt 0x0
	ds_store_2addr_b32 v3, v2, v1 offset1:240
	v_lshrrev_b32_e32 v1, 16, v4
	v_mul_f16_e64 v3, v162, v4
	s_delay_alu instid0(VALU_DEP_2) | instskip(NEXT) | instid1(VALU_DEP_2)
	v_mul_f16_e64 v2, v162, v1
	v_fma_f16 v1, v64, v1, -v3
	v_lshrrev_b32_e32 v3, 16, v5
	s_delay_alu instid0(VALU_DEP_3) | instskip(NEXT) | instid1(VALU_DEP_2)
	v_fmac_f16_e32 v2, v64, v4
	v_sub_f16_e32 v1, v3, v1
	s_delay_alu instid0(VALU_DEP_2) | instskip(NEXT) | instid1(VALU_DEP_2)
	v_sub_f16_e32 v2, v5, v2
	v_fma_f16 v3, v3, 2.0, -v1
	s_delay_alu instid0(VALU_DEP_2) | instskip(SKIP_2) | instid1(VALU_DEP_3)
	v_fma_f16 v4, v5, 2.0, -v2
	v_pack_b32_f16 v1, v2, v1
	v_add_nc_u32_e32 v2, 0x7c0, v58
	v_pack_b32_f16 v3, v4, v3
	ds_store_2addr_b32 v2, v3, v1 offset1:240
	v_lshrrev_b32_e32 v1, 16, v7
	v_mul_f16_e64 v2, v161, v7
	s_delay_alu instid0(VALU_DEP_2) | instskip(NEXT) | instid1(VALU_DEP_2)
	v_mul_f16_e64 v3, v161, v1
	v_fma_f16 v1, v72, v1, -v2
	s_delay_alu instid0(VALU_DEP_2) | instskip(NEXT) | instid1(VALU_DEP_1)
	v_fmac_f16_e32 v3, v72, v7
	v_sub_f16_e32 v2, v6, v3
	v_lshrrev_b32_e32 v3, 16, v6
	s_delay_alu instid0(VALU_DEP_2) | instskip(NEXT) | instid1(VALU_DEP_2)
	v_fma_f16 v4, v6, 2.0, -v2
	v_sub_f16_e32 v1, v3, v1
	s_delay_alu instid0(VALU_DEP_1)
	v_fma_f16 v3, v3, 2.0, -v1
	v_pack_b32_f16 v1, v2, v1
	scratch_load_b32 v2, off, off offset:344 th:TH_LOAD_LU ; 4-byte Folded Reload
	v_pack_b32_f16 v3, v4, v3
	s_wait_loadcnt 0x0
	ds_store_2addr_b32 v2, v3, v1 offset1:240
	v_lshrrev_b32_e32 v1, 16, v8
	v_mul_f16_e64 v3, v160, v8
	s_delay_alu instid0(VALU_DEP_2) | instskip(NEXT) | instid1(VALU_DEP_2)
	v_mul_f16_e64 v2, v160, v1
	v_fma_f16 v1, v68, v1, -v3
	v_lshrrev_b32_e32 v3, 16, v9
	s_delay_alu instid0(VALU_DEP_3) | instskip(NEXT) | instid1(VALU_DEP_2)
	v_fmac_f16_e32 v2, v68, v8
	v_sub_f16_e32 v1, v3, v1
	s_delay_alu instid0(VALU_DEP_2) | instskip(NEXT) | instid1(VALU_DEP_2)
	v_sub_f16_e32 v2, v9, v2
	v_fma_f16 v3, v3, 2.0, -v1
	s_delay_alu instid0(VALU_DEP_2)
	v_fma_f16 v4, v9, 2.0, -v2
	v_pack_b32_f16 v1, v2, v1
	scratch_load_b32 v2, off, off offset:348 th:TH_LOAD_LU ; 4-byte Folded Reload
	v_pack_b32_f16 v3, v4, v3
	s_wait_loadcnt 0x0
	ds_store_2addr_b32 v2, v3, v1 offset1:240
	v_lshrrev_b32_e32 v1, 16, v11
	v_mul_f16_e64 v2, v159, v11
	s_delay_alu instid0(VALU_DEP_2) | instskip(NEXT) | instid1(VALU_DEP_2)
	v_mul_f16_e64 v3, v159, v1
	v_fma_f16 v1, v67, v1, -v2
	s_delay_alu instid0(VALU_DEP_2) | instskip(NEXT) | instid1(VALU_DEP_1)
	v_fmac_f16_e32 v3, v67, v11
	v_sub_f16_e32 v2, v10, v3
	v_lshrrev_b32_e32 v3, 16, v10
	s_delay_alu instid0(VALU_DEP_2) | instskip(NEXT) | instid1(VALU_DEP_2)
	v_fma_f16 v4, v10, 2.0, -v2
	v_sub_f16_e32 v1, v3, v1
	s_delay_alu instid0(VALU_DEP_1)
	v_fma_f16 v3, v3, 2.0, -v1
	v_pack_b32_f16 v1, v2, v1
	scratch_load_b32 v2, off, off offset:352 th:TH_LOAD_LU ; 4-byte Folded Reload
	v_pack_b32_f16 v3, v4, v3
	s_wait_loadcnt 0x0
	ds_store_2addr_b32 v2, v3, v1 offset1:240
	v_lshrrev_b32_e32 v1, 16, v12
	v_mul_f16_e64 v3, v158, v12
	s_delay_alu instid0(VALU_DEP_2) | instskip(NEXT) | instid1(VALU_DEP_2)
	v_mul_f16_e64 v2, v158, v1
	v_fma_f16 v1, v73, v1, -v3
	v_lshrrev_b32_e32 v3, 16, v13
	s_delay_alu instid0(VALU_DEP_3) | instskip(NEXT) | instid1(VALU_DEP_2)
	v_fmac_f16_e32 v2, v73, v12
	v_sub_f16_e32 v1, v3, v1
	s_delay_alu instid0(VALU_DEP_2) | instskip(NEXT) | instid1(VALU_DEP_2)
	v_sub_f16_e32 v2, v13, v2
	v_fma_f16 v3, v3, 2.0, -v1
	s_delay_alu instid0(VALU_DEP_2)
	v_fma_f16 v4, v13, 2.0, -v2
	v_pack_b32_f16 v1, v2, v1
	scratch_load_b32 v2, off, off offset:356 th:TH_LOAD_LU ; 4-byte Folded Reload
	v_pack_b32_f16 v3, v4, v3
	s_wait_loadcnt 0x0
	;; [unrolled: 38-line block ×6, first 2 shown]
	ds_store_2addr_b32 v2, v0, v1 offset1:240
	global_wb scope:SCOPE_SE
	s_wait_dscnt 0x0
	s_barrier_signal -1
	s_barrier_wait -1
	global_inv scope:SCOPE_SE
	ds_load_2addr_stride64_b32 v[0:1], v58 offset0:32 offset1:34
	s_wait_dscnt 0x0
	v_lshrrev_b32_e32 v2, 16, v1
	v_mul_f16_e32 v3, v92, v1
	s_delay_alu instid0(VALU_DEP_2) | instskip(NEXT) | instid1(VALU_DEP_2)
	v_mul_f16_e32 v4, v92, v2
	v_fma_f16 v5, v21, v2, -v3
	s_delay_alu instid0(VALU_DEP_2) | instskip(SKIP_4) | instid1(VALU_DEP_2)
	v_fmac_f16_e32 v4, v21, v1
	ds_load_2addr_stride64_b32 v[1:2], v58 offset0:28 offset1:30
	s_wait_dscnt 0x0
	v_lshrrev_b32_e32 v3, 16, v2
	v_mul_f16_e32 v6, v120, v2
	v_mul_f16_e32 v7, v120, v3
	s_delay_alu instid0(VALU_DEP_2) | instskip(NEXT) | instid1(VALU_DEP_2)
	v_fma_f16 v6, v48, v3, -v6
	v_fmac_f16_e32 v7, v48, v2
	ds_load_2addr_stride64_b32 v[2:3], v58 offset0:4 offset1:6
	s_wait_dscnt 0x0
	v_lshrrev_b32_e32 v8, 16, v2
	v_sub_f16_e32 v29, v2, v4
	s_delay_alu instid0(VALU_DEP_2) | instskip(NEXT) | instid1(VALU_DEP_2)
	v_sub_f16_e32 v28, v8, v5
	v_fma_f16 v2, v2, 2.0, -v29
	s_delay_alu instid0(VALU_DEP_2) | instskip(NEXT) | instid1(VALU_DEP_1)
	v_fma_f16 v4, v8, 2.0, -v28
	v_pack_b32_f16 v2, v2, v4
	ds_load_2addr_stride64_b32 v[4:5], v58 offset1:2
	s_wait_dscnt 0x0
	v_lshrrev_b32_e32 v31, 16, v4
	v_sub_f16_e32 v30, v4, v7
	s_delay_alu instid0(VALU_DEP_2)
	v_sub_f16_e32 v32, v31, v6
	ds_load_2addr_stride64_b32 v[6:7], v58 offset0:36 offset1:38
	ds_load_2addr_stride64_b32 v[8:9], v58 offset0:40 offset1:42
	;; [unrolled: 1-line block ×11, first 2 shown]
	global_wb scope:SCOPE_SE
	s_wait_dscnt 0x0
	s_barrier_signal -1
	s_barrier_wait -1
	v_pack_b32_f16 v33, v30, v32
	global_inv scope:SCOPE_SE
	v_fma_f16 v4, v4, 2.0, -v30
	v_lshrrev_b32_e32 v30, 16, v5
	ds_store_2addr_b32 v34, v2, v33 offset1:224
	v_lshrrev_b32_e32 v2, 16, v0
	v_mul_f16_e64 v34, v170, v0
	v_mul_f16_e32 v36, v127, v7
	s_delay_alu instid0(VALU_DEP_3) | instskip(NEXT) | instid1(VALU_DEP_1)
	v_mul_f16_e64 v33, v170, v2
	v_fmac_f16_e32 v33, v52, v0
	s_delay_alu instid0(VALU_DEP_4) | instskip(SKIP_2) | instid1(VALU_DEP_3)
	v_fma_f16 v0, v52, v2, -v34
	v_lshrrev_b32_e32 v2, 16, v6
	v_mul_f16_e32 v34, v126, v6
	v_sub_f16_e32 v0, v30, v0
	s_delay_alu instid0(VALU_DEP_3) | instskip(NEXT) | instid1(VALU_DEP_3)
	v_mul_f16_e32 v35, v126, v2
	v_fma_f16 v2, v74, v2, -v34
	s_delay_alu instid0(VALU_DEP_2) | instskip(SKIP_1) | instid1(VALU_DEP_1)
	v_fmac_f16_e32 v35, v74, v6
	v_lshrrev_b32_e32 v6, 16, v7
	v_mul_f16_e32 v34, v127, v6
	v_fma_f16 v6, v53, v6, -v36
	s_delay_alu instid0(VALU_DEP_2) | instskip(SKIP_2) | instid1(VALU_DEP_2)
	v_fmac_f16_e32 v34, v53, v7
	v_fma_f16 v7, v31, 2.0, -v32
	v_sub_f16_e32 v31, v5, v33
	v_pack_b32_f16 v4, v4, v7
	s_delay_alu instid0(VALU_DEP_2) | instskip(SKIP_2) | instid1(VALU_DEP_2)
	v_fma_f16 v5, v5, 2.0, -v31
	v_fma_f16 v7, v30, 2.0, -v0
	v_pack_b32_f16 v0, v31, v0
	v_pack_b32_f16 v5, v5, v7
	ds_store_2addr_stride64_b32 v58, v4, v5 offset1:2
	v_pack_b32_f16 v4, v29, v28
	v_lshrrev_b32_e32 v5, 16, v17
	v_mul_f16_e32 v29, v108, v19
	ds_store_2addr_stride64_b32 v163, v0, v4 offset0:9 offset1:11
	v_lshrrev_b32_e32 v4, 16, v3
	v_sub_f16_e32 v0, v3, v35
	s_delay_alu instid0(VALU_DEP_2) | instskip(NEXT) | instid1(VALU_DEP_2)
	v_sub_f16_e32 v2, v4, v2
	v_fma_f16 v3, v3, 2.0, -v0
	s_delay_alu instid0(VALU_DEP_2) | instskip(SKIP_2) | instid1(VALU_DEP_3)
	v_fma_f16 v4, v4, 2.0, -v2
	v_pack_b32_f16 v0, v0, v2
	v_mul_f16_e64 v2, v129, v8
	v_pack_b32_f16 v3, v3, v4
	ds_store_b32 v130, v3
	ds_store_b32 v130, v0 offset:1920
	v_lshrrev_b32_e32 v0, 16, v8
	v_lshrrev_b32_e32 v4, 16, v16
	s_delay_alu instid0(VALU_DEP_2) | instskip(SKIP_2) | instid1(VALU_DEP_4)
	v_mul_f16_e64 v3, v129, v0
	v_fma_f16 v0, v55, v0, -v2
	v_sub_f16_e32 v2, v16, v34
	v_sub_f16_e32 v6, v4, v6
	s_delay_alu instid0(VALU_DEP_4) | instskip(NEXT) | instid1(VALU_DEP_4)
	v_fmac_f16_e32 v3, v55, v8
	v_sub_f16_e32 v0, v5, v0
	s_delay_alu instid0(VALU_DEP_4) | instskip(NEXT) | instid1(VALU_DEP_4)
	v_fma_f16 v7, v16, 2.0, -v2
	v_fma_f16 v4, v4, 2.0, -v6
	v_pack_b32_f16 v2, v2, v6
	v_sub_f16_e32 v3, v17, v3
	v_fma_f16 v5, v5, 2.0, -v0
	v_lshrrev_b32_e32 v6, 16, v20
	v_pack_b32_f16 v4, v7, v4
	v_mul_f16_e64 v7, v128, v9
	v_fma_f16 v8, v17, 2.0, -v3
	v_pack_b32_f16 v0, v3, v0
	v_mul_f16_e32 v16, v100, v13
	s_delay_alu instid0(VALU_DEP_3) | instskip(SKIP_2) | instid1(VALU_DEP_1)
	v_pack_b32_f16 v5, v8, v5
	ds_store_2addr_stride64_b32 v163, v4, v5 offset0:15 offset1:17
	v_lshrrev_b32_e32 v4, 16, v9
	v_mul_f16_e64 v5, v128, v4
	v_fma_f16 v4, v63, v4, -v7
	s_delay_alu instid0(VALU_DEP_2) | instskip(NEXT) | instid1(VALU_DEP_2)
	v_fmac_f16_e32 v5, v63, v9
	v_sub_f16_e32 v4, v6, v4
	v_mul_f16_e32 v9, v119, v11
	s_delay_alu instid0(VALU_DEP_3) | instskip(NEXT) | instid1(VALU_DEP_3)
	v_sub_f16_e32 v5, v20, v5
	v_fma_f16 v6, v6, 2.0, -v4
	s_delay_alu instid0(VALU_DEP_2) | instskip(SKIP_2) | instid1(VALU_DEP_3)
	v_fma_f16 v7, v20, 2.0, -v5
	v_pack_b32_f16 v3, v5, v4
	v_mul_f16_e32 v20, v104, v15
	v_pack_b32_f16 v6, v7, v6
	v_add_nc_u32_e32 v7, 0x1380, v58
	ds_store_2addr_stride64_b32 v58, v0, v3 offset0:25 offset1:27
	v_lshrrev_b32_e32 v3, 16, v21
	ds_store_2addr_b32 v7, v6, v2 offset1:224
	v_lshrrev_b32_e32 v2, 16, v10
	v_mul_f16_e32 v6, v115, v10
	s_delay_alu instid0(VALU_DEP_2) | instskip(NEXT) | instid1(VALU_DEP_2)
	v_mul_f16_e32 v7, v115, v2
	v_fma_f16 v2, v66, v2, -v6
	v_lshrrev_b32_e32 v6, 16, v11
	s_delay_alu instid0(VALU_DEP_3) | instskip(NEXT) | instid1(VALU_DEP_3)
	v_fmac_f16_e32 v7, v66, v10
	v_sub_f16_e32 v2, v3, v2
	s_delay_alu instid0(VALU_DEP_3)
	v_mul_f16_e32 v8, v119, v6
	v_fma_f16 v6, v54, v6, -v9
	v_lshrrev_b32_e32 v9, 16, v12
	v_sub_f16_e32 v0, v21, v7
	v_fma_f16 v3, v3, 2.0, -v2
	v_fmac_f16_e32 v8, v54, v11
	v_mul_f16_e32 v10, v114, v12
	v_mul_f16_e32 v11, v114, v9
	v_fma_f16 v4, v21, 2.0, -v0
	v_pack_b32_f16 v0, v0, v2
	s_delay_alu instid0(VALU_DEP_4) | instskip(NEXT) | instid1(VALU_DEP_4)
	v_fma_f16 v9, v57, v9, -v10
	v_fmac_f16_e32 v11, v57, v12
	s_delay_alu instid0(VALU_DEP_4)
	v_pack_b32_f16 v3, v4, v3
	ds_store_b32 v99, v3
	ds_store_b32 v99, v0 offset:1920
	v_lshrrev_b32_e32 v0, 16, v22
	v_sub_f16_e32 v3, v22, v8
	v_lshrrev_b32_e32 v10, 16, v13
	s_delay_alu instid0(VALU_DEP_3) | instskip(NEXT) | instid1(VALU_DEP_3)
	v_sub_f16_e32 v2, v0, v6
	v_fma_f16 v4, v22, 2.0, -v3
	s_delay_alu instid0(VALU_DEP_3)
	v_mul_f16_e32 v12, v100, v10
	v_fma_f16 v10, v56, v10, -v16
	v_mul_f16_e32 v16, v101, v14
	v_fma_f16 v0, v0, 2.0, -v2
	v_pack_b32_f16 v2, v3, v2
	v_sub_f16_e32 v3, v23, v11
	v_fmac_f16_e32 v12, v56, v13
	v_lshrrev_b32_e32 v13, 16, v14
	v_pack_b32_f16 v0, v4, v0
	v_lshrrev_b32_e32 v4, 16, v23
	v_fma_f16 v5, v23, 2.0, -v3
	ds_store_b32 v86, v0 offset:7680
	ds_store_b32 v86, v2 offset:9600
	v_sub_f16_e32 v6, v4, v9
	v_lshrrev_b32_e32 v2, 16, v24
	v_mul_f16_e32 v17, v101, v13
	v_fma_f16 v13, v60, v13, -v16
	s_delay_alu instid0(VALU_DEP_4)
	v_fma_f16 v4, v4, 2.0, -v6
	v_pack_b32_f16 v0, v3, v6
	v_sub_f16_e32 v3, v2, v10
	v_fmac_f16_e32 v17, v60, v14
	v_lshrrev_b32_e32 v14, 16, v15
	v_pack_b32_f16 v4, v5, v4
	v_sub_f16_e32 v5, v24, v12
	v_fma_f16 v2, v2, 2.0, -v3
	ds_store_b32 v88, v4 offset:7680
	ds_store_b32 v88, v0 offset:9600
	v_fma_f16 v6, v24, 2.0, -v5
	v_pack_b32_f16 v0, v5, v3
	v_mul_f16_e32 v16, v104, v14
	v_fma_f16 v14, v59, v14, -v20
	v_mul_f16_e32 v20, v102, v18
	v_pack_b32_f16 v2, v6, v2
	ds_store_b32 v87, v2 offset:7680
	ds_store_b32 v87, v0 offset:9600
	v_lshrrev_b32_e32 v2, 16, v25
	v_sub_f16_e32 v0, v25, v17
	v_fmac_f16_e32 v16, v59, v15
	v_lshrrev_b32_e32 v15, 16, v18
	s_delay_alu instid0(VALU_DEP_4) | instskip(NEXT) | instid1(VALU_DEP_4)
	v_sub_f16_e32 v4, v2, v13
	v_fma_f16 v3, v25, 2.0, -v0
	s_delay_alu instid0(VALU_DEP_3) | instskip(SKIP_1) | instid1(VALU_DEP_4)
	v_mul_f16_e32 v28, v102, v15
	v_fma_f16 v15, v61, v15, -v20
	v_fma_f16 v2, v2, 2.0, -v4
	v_pack_b32_f16 v0, v0, v4
	s_delay_alu instid0(VALU_DEP_4) | instskip(SKIP_1) | instid1(VALU_DEP_4)
	v_fmac_f16_e32 v28, v61, v18
	v_lshrrev_b32_e32 v18, 16, v19
	v_pack_b32_f16 v2, v3, v2
	ds_store_b32 v110, v2
	ds_store_b32 v110, v0 offset:1920
	v_lshrrev_b32_e32 v0, 16, v26
	v_sub_f16_e32 v3, v26, v16
	v_mul_f16_e32 v20, v108, v18
	v_fma_f16 v18, v62, v18, -v29
	s_delay_alu instid0(VALU_DEP_4) | instskip(NEXT) | instid1(VALU_DEP_4)
	v_sub_f16_e32 v2, v0, v14
	v_fma_f16 v4, v26, 2.0, -v3
	s_delay_alu instid0(VALU_DEP_4) | instskip(NEXT) | instid1(VALU_DEP_3)
	v_fmac_f16_e32 v20, v62, v19
	v_fma_f16 v0, v0, 2.0, -v2
	v_pack_b32_f16 v2, v3, v2
	v_sub_f16_e32 v3, v27, v28
	s_delay_alu instid0(VALU_DEP_3) | instskip(SKIP_1) | instid1(VALU_DEP_3)
	v_pack_b32_f16 v0, v4, v0
	v_lshrrev_b32_e32 v4, 16, v27
	v_fma_f16 v5, v27, 2.0, -v3
	ds_store_b32 v89, v0 offset:11520
	ds_store_b32 v89, v2 offset:13440
	v_sub_f16_e32 v6, v4, v15
	v_sub_f16_e32 v2, v1, v20
	s_delay_alu instid0(VALU_DEP_2) | instskip(SKIP_2) | instid1(VALU_DEP_4)
	v_fma_f16 v4, v4, 2.0, -v6
	v_pack_b32_f16 v0, v3, v6
	v_lshrrev_b32_e32 v3, 16, v1
	v_fma_f16 v1, v1, 2.0, -v2
	s_delay_alu instid0(VALU_DEP_4) | instskip(SKIP_3) | instid1(VALU_DEP_1)
	v_pack_b32_f16 v4, v5, v4
	ds_store_b32 v90, v4 offset:11520
	ds_store_b32 v90, v0 offset:13440
	v_sub_f16_e32 v5, v3, v18
	v_fma_f16 v3, v3, 2.0, -v5
	v_pack_b32_f16 v0, v2, v5
	s_delay_alu instid0(VALU_DEP_2)
	v_pack_b32_f16 v1, v1, v3
	ds_store_b32 v91, v1 offset:11520
	ds_store_b32 v91, v0 offset:13440
	global_wb scope:SCOPE_SE
	s_wait_dscnt 0x0
	s_barrier_signal -1
	s_barrier_wait -1
	global_inv scope:SCOPE_SE
	ds_load_2addr_stride64_b32 v[0:1], v58 offset0:32 offset1:34
	s_wait_dscnt 0x0
	v_lshrrev_b32_e32 v2, 16, v0
	v_mul_f16_e32 v3, v98, v0
	s_delay_alu instid0(VALU_DEP_2) | instskip(NEXT) | instid1(VALU_DEP_2)
	v_mul_f16_e32 v4, v98, v2
	v_fma_f16 v5, v43, v2, -v3
	v_mul_f16_e32 v2, v96, v1
	s_delay_alu instid0(VALU_DEP_3) | instskip(SKIP_1) | instid1(VALU_DEP_1)
	v_fmac_f16_e32 v4, v43, v0
	v_lshrrev_b32_e32 v0, 16, v1
	v_mul_f16_e32 v22, v96, v0
	s_delay_alu instid0(VALU_DEP_4) | instskip(NEXT) | instid1(VALU_DEP_2)
	v_fma_f16 v23, v42, v0, -v2
	v_fmac_f16_e32 v22, v42, v1
	ds_load_2addr_stride64_b32 v[0:1], v58 offset0:36 offset1:38
	s_wait_dscnt 0x0
	v_lshrrev_b32_e32 v2, 16, v0
	v_mul_f16_e32 v3, v97, v0
	s_delay_alu instid0(VALU_DEP_2) | instskip(NEXT) | instid1(VALU_DEP_2)
	v_mul_f16_e32 v24, v97, v2
	v_fma_f16 v25, v44, v2, -v3
	v_mul_f16_e32 v2, v95, v1
	s_delay_alu instid0(VALU_DEP_3) | instskip(SKIP_1) | instid1(VALU_DEP_1)
	v_fmac_f16_e32 v24, v44, v0
	v_lshrrev_b32_e32 v0, 16, v1
	v_mul_f16_e32 v26, v95, v0
	s_delay_alu instid0(VALU_DEP_4) | instskip(NEXT) | instid1(VALU_DEP_2)
	v_fma_f16 v27, v45, v0, -v2
	v_fmac_f16_e32 v26, v45, v1
	;; [unrolled: 15-line block ×3, first 2 shown]
	ds_load_2addr_stride64_b32 v[1:2], v58 offset0:28 offset1:30
	s_wait_dscnt 0x0
	v_lshrrev_b32_e32 v3, 16, v2
	v_mul_f16_e32 v6, v111, v2
	s_delay_alu instid0(VALU_DEP_2) | instskip(NEXT) | instid1(VALU_DEP_2)
	v_mul_f16_e32 v7, v111, v3
	v_fma_f16 v6, v49, v3, -v6
	s_delay_alu instid0(VALU_DEP_2)
	v_fmac_f16_e32 v7, v49, v2
	ds_load_2addr_stride64_b32 v[2:3], v58 offset1:2
	s_wait_dscnt 0x0
	v_sub_f16_e32 v32, v3, v4
	v_lshrrev_b32_e32 v4, 16, v2
	v_sub_f16_e32 v31, v2, v7
	v_lshrrev_b32_e32 v7, 16, v3
	s_delay_alu instid0(VALU_DEP_4) | instskip(NEXT) | instid1(VALU_DEP_4)
	v_fma_f16 v3, v3, 2.0, -v32
	v_sub_f16_e32 v33, v4, v6
	s_delay_alu instid0(VALU_DEP_4) | instskip(NEXT) | instid1(VALU_DEP_4)
	v_fma_f16 v2, v2, 2.0, -v31
	v_sub_f16_e32 v35, v7, v5
	s_delay_alu instid0(VALU_DEP_3) | instskip(NEXT) | instid1(VALU_DEP_2)
	v_fma_f16 v4, v4, 2.0, -v33
	v_pack_b32_f16 v32, v32, v35
	s_delay_alu instid0(VALU_DEP_2) | instskip(SKIP_1) | instid1(VALU_DEP_1)
	v_pack_b32_f16 v34, v2, v4
	v_fma_f16 v2, v7, 2.0, -v35
	v_pack_b32_f16 v36, v3, v2
	ds_load_2addr_stride64_b32 v[16:17], v58 offset0:4 offset1:6
	ds_load_2addr_stride64_b32 v[18:19], v58 offset0:8 offset1:10
	;; [unrolled: 1-line block ×10, first 2 shown]
	global_wb scope:SCOPE_SE
	s_wait_dscnt 0x0
	s_barrier_signal -1
	s_barrier_wait -1
	global_inv scope:SCOPE_SE
	ds_store_2addr_stride64_b32 v58, v34, v36 offset1:2
	v_lshrrev_b32_e32 v36, 16, v155
	v_lshrrev_b32_e32 v34, 16, v16
	v_sub_f16_e32 v22, v16, v22
	v_sub_f16_e32 v24, v17, v24
	s_delay_alu instid0(VALU_DEP_3) | instskip(NEXT) | instid1(VALU_DEP_3)
	v_sub_f16_e32 v23, v34, v23
	v_fma_f16 v16, v16, 2.0, -v22
	s_delay_alu instid0(VALU_DEP_2)
	v_pack_b32_f16 v35, v22, v23
	v_fma_f16 v23, v34, 2.0, -v23
	v_lshrrev_b32_e32 v22, 16, v17
	v_fma_f16 v17, v17, 2.0, -v24
	ds_store_2addr_stride64_b32 v58, v32, v35 offset0:17 offset1:19
	v_pack_b32_f16 v16, v16, v23
	v_sub_f16_e32 v23, v22, v25
	v_lshrrev_b32_e32 v25, 16, v148
	s_delay_alu instid0(VALU_DEP_2) | instskip(NEXT) | instid1(VALU_DEP_1)
	v_fma_f16 v22, v22, 2.0, -v23
	v_pack_b32_f16 v17, v17, v22
	v_lshrrev_b32_e32 v22, 16, v18
	ds_store_2addr_stride64_b32 v58, v16, v17 offset0:4 offset1:6
	v_pack_b32_f16 v16, v24, v23
	v_sub_f16_e32 v17, v18, v26
	v_sub_f16_e32 v23, v22, v27
	v_lshrrev_b32_e32 v26, 16, v146
	s_delay_alu instid0(VALU_DEP_2)
	v_pack_b32_f16 v24, v17, v23
	v_fma_f16 v17, v18, 2.0, -v17
	v_lshrrev_b32_e32 v18, 16, v19
	ds_store_2addr_stride64_b32 v58, v16, v24 offset0:21 offset1:23
	v_fma_f16 v16, v22, 2.0, -v23
	v_sub_f16_e32 v22, v19, v28
	v_lshrrev_b32_e32 v23, 16, v138
	v_lshrrev_b32_e32 v24, 16, v150
	s_delay_alu instid0(VALU_DEP_4) | instskip(SKIP_2) | instid1(VALU_DEP_2)
	v_pack_b32_f16 v16, v17, v16
	v_sub_f16_e32 v17, v18, v29
	v_fma_f16 v19, v19, 2.0, -v22
	v_fma_f16 v18, v18, 2.0, -v17
	s_delay_alu instid0(VALU_DEP_1)
	v_pack_b32_f16 v18, v19, v18
	v_sub_f16_e32 v19, v20, v30
	ds_store_2addr_stride64_b32 v58, v16, v18 offset0:8 offset1:10
	v_lshrrev_b32_e32 v18, 16, v20
	v_fma_f16 v20, v20, 2.0, -v19
	v_pack_b32_f16 v16, v31, v33
	s_delay_alu instid0(VALU_DEP_3) | instskip(NEXT) | instid1(VALU_DEP_1)
	v_sub_f16_e32 v0, v18, v0
	v_fma_f16 v18, v18, 2.0, -v0
	v_pack_b32_f16 v0, v19, v0
	s_delay_alu instid0(VALU_DEP_2)
	v_pack_b32_f16 v18, v20, v18
	ds_store_2addr_stride64_b32 v58, v18, v16 offset0:12 offset1:15
	v_pack_b32_f16 v16, v22, v17
	v_lshrrev_b32_e32 v22, 16, v140
	ds_store_2addr_stride64_b32 v58, v16, v0 offset0:25 offset1:27
	v_lshrrev_b32_e32 v0, 16, v14
	v_mul_f16_e32 v16, v121, v14
	s_delay_alu instid0(VALU_DEP_2) | instskip(NEXT) | instid1(VALU_DEP_2)
	v_mul_f16_e32 v17, v121, v0
	v_fma_f16 v0, v51, v0, -v16
	v_lshrrev_b32_e32 v16, 16, v21
	s_delay_alu instid0(VALU_DEP_3) | instskip(NEXT) | instid1(VALU_DEP_2)
	v_fmac_f16_e32 v17, v51, v14
	v_sub_f16_e32 v0, v16, v0
	s_delay_alu instid0(VALU_DEP_2) | instskip(NEXT) | instid1(VALU_DEP_2)
	v_sub_f16_e32 v14, v21, v17
	v_fma_f16 v16, v16, 2.0, -v0
	s_delay_alu instid0(VALU_DEP_2)
	v_fma_f16 v17, v21, 2.0, -v14
	v_pack_b32_f16 v0, v14, v0
	scratch_load_b32 v14, off, off offset:372 th:TH_LOAD_LU ; 4-byte Folded Reload
	v_lshrrev_b32_e32 v21, 16, v142
	v_pack_b32_f16 v16, v17, v16
	s_wait_loadcnt 0x0
	ds_store_2addr_stride64_b32 v14, v16, v0 offset1:15
	scratch_load_b64 v[16:17], off, off offset:192 th:TH_LOAD_LU ; 8-byte Folded Reload
	s_wait_loadcnt 0x0
	v_mov_b32_e32 v14, v16
	s_delay_alu instid0(VALU_DEP_1) | instskip(NEXT) | instid1(VALU_DEP_1)
	v_mad_co_u64_u32 v[16:17], null, s10, v14, 0
	v_mov_b32_e32 v0, v17
	s_delay_alu instid0(VALU_DEP_1) | instskip(SKIP_2) | instid1(VALU_DEP_1)
	v_mad_co_u64_u32 v[17:18], null, s11, v14, v[0:1]
	v_mad_co_u64_u32 v[18:19], null, s8, v228, 0
	s_mul_u64 s[10:11], s[8:9], 0x600
	v_mov_b32_e32 v0, v19
	s_delay_alu instid0(VALU_DEP_1) | instskip(SKIP_2) | instid1(VALU_DEP_1)
	v_mad_co_u64_u32 v[19:20], null, s9, v228, v[0:1]
	v_lshrrev_b32_e32 v0, 16, v15
	v_lshrrev_b32_e32 v20, 16, v144
	v_mul_f16_e32 v14, v20, v0
	v_mul_f16_e32 v20, v20, v15
	s_delay_alu instid0(VALU_DEP_2) | instskip(SKIP_1) | instid1(VALU_DEP_3)
	v_fmac_f16_e64 v14, v144, v15
	v_lshrrev_b32_e32 v15, 16, v12
	v_fma_f16 v0, v144, v0, -v20
	v_mul_f16_e32 v20, v21, v12
	s_delay_alu instid0(VALU_DEP_3) | instskip(NEXT) | instid1(VALU_DEP_2)
	v_mul_f16_e32 v21, v21, v15
	v_fma_f16 v15, v142, v15, -v20
	s_delay_alu instid0(VALU_DEP_2) | instskip(SKIP_1) | instid1(VALU_DEP_1)
	v_fmac_f16_e64 v21, v142, v12
	v_lshrrev_b32_e32 v12, 16, v13
	v_mul_f16_e32 v20, v22, v12
	v_mul_f16_e32 v22, v22, v13
	s_delay_alu instid0(VALU_DEP_2) | instskip(SKIP_1) | instid1(VALU_DEP_3)
	v_fmac_f16_e64 v20, v140, v13
	v_lshrrev_b32_e32 v13, 16, v10
	v_fma_f16 v12, v140, v12, -v22
	v_mul_f16_e32 v22, v23, v10
	s_delay_alu instid0(VALU_DEP_3) | instskip(NEXT) | instid1(VALU_DEP_2)
	v_mul_f16_e32 v23, v23, v13
	v_fma_f16 v13, v138, v13, -v22
	s_delay_alu instid0(VALU_DEP_2) | instskip(SKIP_1) | instid1(VALU_DEP_1)
	v_fmac_f16_e64 v23, v138, v10
	v_lshrrev_b32_e32 v10, 16, v11
	v_mul_f16_e32 v22, v24, v10
	v_mul_f16_e32 v24, v24, v11
	s_delay_alu instid0(VALU_DEP_2) | instskip(SKIP_1) | instid1(VALU_DEP_3)
	v_fmac_f16_e64 v22, v150, v11
	v_lshrrev_b32_e32 v11, 16, v8
	v_fma_f16 v10, v150, v10, -v24
	v_mul_f16_e32 v24, v25, v8
	s_delay_alu instid0(VALU_DEP_3) | instskip(NEXT) | instid1(VALU_DEP_2)
	v_mul_f16_e32 v25, v25, v11
	v_fma_f16 v11, v148, v11, -v24
	s_delay_alu instid0(VALU_DEP_2) | instskip(SKIP_1) | instid1(VALU_DEP_1)
	v_fmac_f16_e64 v25, v148, v8
	v_lshrrev_b32_e32 v8, 16, v9
	v_mul_f16_e32 v24, v26, v8
	v_mul_f16_e32 v26, v26, v9
	s_delay_alu instid0(VALU_DEP_2)
	v_fmac_f16_e64 v24, v146, v9
	v_sub_f16_e32 v9, v6, v14
	v_sub_f16_e32 v14, v7, v21
	v_lshrrev_b32_e32 v21, 16, v6
	v_fma_f16 v8, v146, v8, -v26
	v_lshrrev_b32_e32 v26, 16, v7
	v_fma_f16 v6, v6, 2.0, -v9
	v_fma_f16 v7, v7, 2.0, -v14
	v_sub_f16_e32 v0, v21, v0
	s_delay_alu instid0(VALU_DEP_4) | instskip(NEXT) | instid1(VALU_DEP_2)
	v_sub_f16_e32 v15, v26, v15
	v_fma_f16 v21, v21, 2.0, -v0
	v_pack_b32_f16 v0, v9, v0
	s_delay_alu instid0(VALU_DEP_2) | instskip(NEXT) | instid1(VALU_DEP_4)
	v_pack_b32_f16 v6, v6, v21
	v_fma_f16 v21, v26, 2.0, -v15
	s_delay_alu instid0(VALU_DEP_1) | instskip(SKIP_4) | instid1(VALU_DEP_2)
	v_pack_b32_f16 v7, v7, v21
	ds_store_2addr_stride64_b32 v58, v6, v7 offset0:31 offset1:33
	v_pack_b32_f16 v6, v14, v15
	v_lshrrev_b32_e32 v14, 16, v4
	v_sub_f16_e32 v7, v4, v20
	v_sub_f16_e32 v12, v14, v12
	s_delay_alu instid0(VALU_DEP_2) | instskip(NEXT) | instid1(VALU_DEP_2)
	v_fma_f16 v4, v4, 2.0, -v7
	v_pack_b32_f16 v15, v7, v12
	v_lshrrev_b32_e32 v7, 16, v5
	ds_store_2addr_stride64_b32 v58, v6, v15 offset0:48 offset1:50
	v_fma_f16 v6, v14, 2.0, -v12
	v_sub_f16_e32 v12, v5, v23
	s_delay_alu instid0(VALU_DEP_2) | instskip(SKIP_1) | instid1(VALU_DEP_3)
	v_pack_b32_f16 v4, v4, v6
	v_sub_f16_e32 v6, v7, v13
	v_fma_f16 v5, v5, 2.0, -v12
	s_delay_alu instid0(VALU_DEP_2) | instskip(NEXT) | instid1(VALU_DEP_1)
	v_fma_f16 v7, v7, 2.0, -v6
	v_pack_b32_f16 v5, v5, v7
	ds_store_2addr_stride64_b32 v58, v4, v5 offset0:35 offset1:37
	v_pack_b32_f16 v4, v12, v6
	v_lshrrev_b32_e32 v6, 16, v2
	v_sub_f16_e32 v5, v2, v22
	s_delay_alu instid0(VALU_DEP_2) | instskip(NEXT) | instid1(VALU_DEP_2)
	v_sub_f16_e32 v7, v6, v10
	v_fma_f16 v2, v2, 2.0, -v5
	s_delay_alu instid0(VALU_DEP_2) | instskip(SKIP_4) | instid1(VALU_DEP_2)
	v_pack_b32_f16 v10, v5, v7
	v_lshrrev_b32_e32 v5, 16, v3
	ds_store_2addr_stride64_b32 v58, v4, v10 offset0:52 offset1:54
	v_fma_f16 v4, v6, 2.0, -v7
	v_sub_f16_e32 v6, v3, v25
	v_pack_b32_f16 v2, v2, v4
	v_sub_f16_e32 v4, v5, v11
	s_delay_alu instid0(VALU_DEP_3) | instskip(NEXT) | instid1(VALU_DEP_2)
	v_fma_f16 v3, v3, 2.0, -v6
	v_fma_f16 v5, v5, 2.0, -v4
	s_delay_alu instid0(VALU_DEP_1) | instskip(SKIP_3) | instid1(VALU_DEP_2)
	v_pack_b32_f16 v3, v3, v5
	ds_store_2addr_stride64_b32 v58, v2, v3 offset0:39 offset1:41
	v_lshrrev_b32_e32 v3, 16, v1
	v_sub_f16_e32 v2, v1, v24
	v_sub_f16_e32 v5, v3, v8
	s_delay_alu instid0(VALU_DEP_2) | instskip(NEXT) | instid1(VALU_DEP_2)
	v_fma_f16 v1, v1, 2.0, -v2
	v_fma_f16 v3, v3, 2.0, -v5
	s_delay_alu instid0(VALU_DEP_1)
	v_pack_b32_f16 v1, v1, v3
	ds_store_2addr_stride64_b32 v58, v1, v0 offset0:43 offset1:46
	v_pack_b32_f16 v0, v6, v4
	v_pack_b32_f16 v1, v2, v5
	v_lshrrev_b32_e32 v4, 16, v195
	ds_store_2addr_stride64_b32 v58, v0, v1 offset0:56 offset1:58
	global_wb scope:SCOPE_SE
	s_wait_dscnt 0x0
	s_barrier_signal -1
	s_barrier_wait -1
	global_inv scope:SCOPE_SE
	ds_load_2addr_stride64_b32 v[0:1], v58 offset0:32 offset1:34
	s_wait_dscnt 0x0
	v_lshrrev_b32_e32 v2, 16, v0
	v_mul_f16_e32 v3, v4, v0
	s_delay_alu instid0(VALU_DEP_2) | instskip(NEXT) | instid1(VALU_DEP_2)
	v_mul_f16_e32 v4, v4, v2
	v_fma_f16 v3, v195, v2, -v3
	v_lshrrev_b32_e32 v2, 16, v216
	s_delay_alu instid0(VALU_DEP_3) | instskip(SKIP_1) | instid1(VALU_DEP_1)
	v_fmac_f16_e64 v4, v195, v0
	v_lshrrev_b32_e32 v0, 16, v1
	v_mul_f16_e32 v5, v2, v0
	v_mul_f16_e32 v2, v2, v1
	s_delay_alu instid0(VALU_DEP_2) | instskip(NEXT) | instid1(VALU_DEP_2)
	v_fmac_f16_e64 v5, v216, v1
	v_fma_f16 v6, v216, v0, -v2
	ds_load_2addr_stride64_b32 v[0:1], v58 offset0:36 offset1:38
	s_wait_dscnt 0x0
	v_lshrrev_b32_e32 v2, 16, v0
	v_mul_f16_e64 v7, v230, v0
	s_delay_alu instid0(VALU_DEP_2) | instskip(NEXT) | instid1(VALU_DEP_2)
	v_mul_f16_e64 v8, v230, v2
	v_fma_f16 v7, v218, v2, -v7
	v_mul_f16_e64 v2, v235, v1
	s_delay_alu instid0(VALU_DEP_3) | instskip(SKIP_1) | instid1(VALU_DEP_1)
	v_fmac_f16_e64 v8, v218, v0
	v_lshrrev_b32_e32 v0, 16, v1
	v_mul_f16_e64 v9, v235, v0
	s_delay_alu instid0(VALU_DEP_4) | instskip(NEXT) | instid1(VALU_DEP_2)
	v_fma_f16 v10, v220, v0, -v2
	v_fmac_f16_e64 v9, v220, v1
	ds_load_2addr_stride64_b32 v[0:1], v58 offset0:40 offset1:42
	s_wait_dscnt 0x0
	v_lshrrev_b32_e32 v2, 16, v0
	v_mul_f16_e64 v11, v238, v0
	s_delay_alu instid0(VALU_DEP_2) | instskip(NEXT) | instid1(VALU_DEP_2)
	v_mul_f16_e64 v12, v238, v2
	v_fma_f16 v11, v221, v2, -v11
	v_mul_f16_e64 v2, v243, v1
	s_delay_alu instid0(VALU_DEP_3) | instskip(SKIP_1) | instid1(VALU_DEP_1)
	v_fmac_f16_e64 v12, v221, v0
	v_lshrrev_b32_e32 v0, 16, v1
	v_mul_f16_e64 v13, v243, v0
	s_delay_alu instid0(VALU_DEP_4) | instskip(NEXT) | instid1(VALU_DEP_2)
	v_fma_f16 v14, v222, v0, -v2
	v_fmac_f16_e64 v13, v222, v1
	;; [unrolled: 15-line block ×3, first 2 shown]
	ds_load_2addr_stride64_b32 v[0:1], v58 offset0:48 offset1:50
	s_wait_dscnt 0x0
	v_lshrrev_b32_e32 v2, 16, v0
	v_mul_f16_e64 v23, v180, v0
	s_delay_alu instid0(VALU_DEP_2) | instskip(NEXT) | instid1(VALU_DEP_2)
	v_mul_f16_e64 v24, v180, v2
	v_fma_f16 v23, v85, v2, -v23
	v_mul_f16_e64 v2, v179, v1
	s_delay_alu instid0(VALU_DEP_3) | instskip(SKIP_1) | instid1(VALU_DEP_1)
	v_fmac_f16_e32 v24, v85, v0
	v_lshrrev_b32_e32 v0, 16, v1
	v_mul_f16_e64 v25, v179, v0
	s_delay_alu instid0(VALU_DEP_4) | instskip(NEXT) | instid1(VALU_DEP_2)
	v_fma_f16 v26, v84, v0, -v2
	v_fmac_f16_e32 v25, v84, v1
	ds_load_2addr_stride64_b32 v[0:1], v58 offset0:52 offset1:54
	s_wait_dscnt 0x0
	v_lshrrev_b32_e32 v2, 16, v0
	v_mul_f16_e64 v27, v176, v0
	s_delay_alu instid0(VALU_DEP_2) | instskip(NEXT) | instid1(VALU_DEP_2)
	v_mul_f16_e64 v28, v176, v2
	v_fma_f16 v27, v83, v2, -v27
	v_mul_f16_e64 v2, v175, v1
	s_delay_alu instid0(VALU_DEP_3) | instskip(SKIP_1) | instid1(VALU_DEP_1)
	v_fmac_f16_e32 v28, v83, v0
	v_lshrrev_b32_e32 v0, 16, v1
	v_mul_f16_e64 v29, v175, v0
	s_delay_alu instid0(VALU_DEP_4) | instskip(NEXT) | instid1(VALU_DEP_2)
	v_fma_f16 v30, v82, v0, -v2
	v_fmac_f16_e32 v29, v82, v1
	;; [unrolled: 15-line block ×3, first 2 shown]
	ds_load_2addr_stride64_b32 v[0:1], v58 offset0:28 offset1:30
	s_wait_dscnt 0x0
	v_lshrrev_b32_e32 v2, 16, v1
	v_mul_f16_e32 v35, v36, v1
	s_delay_alu instid0(VALU_DEP_2) | instskip(NEXT) | instid1(VALU_DEP_2)
	v_mul_f16_e32 v36, v36, v2
	v_fma_f16 v35, v155, v2, -v35
	s_delay_alu instid0(VALU_DEP_2)
	v_fmac_f16_e64 v36, v155, v1
	ds_load_2addr_stride64_b32 v[1:2], v58 offset1:2
	s_wait_dscnt 0x0
	v_lshrrev_b32_e32 v37, 16, v1
	v_sub_f16_e32 v36, v1, v36
	v_lshrrev_b32_e32 v38, 16, v2
	v_sub_f16_e32 v4, v2, v4
	s_delay_alu instid0(VALU_DEP_4) | instskip(NEXT) | instid1(VALU_DEP_4)
	v_sub_f16_e32 v35, v37, v35
	v_fma_f16 v1, v1, 2.0, -v36
	s_delay_alu instid0(VALU_DEP_4) | instskip(NEXT) | instid1(VALU_DEP_4)
	v_sub_f16_e32 v3, v38, v3
	v_fma_f16 v2, v2, 2.0, -v4
	s_delay_alu instid0(VALU_DEP_4) | instskip(NEXT) | instid1(VALU_DEP_1)
	v_fma_f16 v37, v37, 2.0, -v35
	v_pack_b32_f16 v1, v1, v37
	s_delay_alu instid0(VALU_DEP_4) | instskip(SKIP_1) | instid1(VALU_DEP_2)
	v_fma_f16 v37, v38, 2.0, -v3
	v_pack_b32_f16 v3, v4, v3
	v_pack_b32_f16 v2, v2, v37
	ds_store_2addr_stride64_b32 v58, v1, v2 offset1:2
	ds_load_2addr_stride64_b32 v[1:2], v58 offset0:4 offset1:6
	s_wait_dscnt 0x0
	v_sub_f16_e32 v4, v1, v5
	v_lshrrev_b32_e32 v5, 16, v1
	s_delay_alu instid0(VALU_DEP_2) | instskip(NEXT) | instid1(VALU_DEP_2)
	v_fma_f16 v1, v1, 2.0, -v4
	v_sub_f16_e32 v6, v5, v6
	s_delay_alu instid0(VALU_DEP_1) | instskip(SKIP_4) | instid1(VALU_DEP_2)
	v_pack_b32_f16 v37, v4, v6
	v_lshrrev_b32_e32 v4, 16, v2
	ds_store_2addr_stride64_b32 v58, v3, v37 offset0:32 offset1:34
	v_fma_f16 v3, v5, 2.0, -v6
	v_sub_f16_e32 v5, v2, v8
	v_pack_b32_f16 v1, v1, v3
	v_sub_f16_e32 v3, v4, v7
	s_delay_alu instid0(VALU_DEP_3) | instskip(NEXT) | instid1(VALU_DEP_2)
	v_fma_f16 v2, v2, 2.0, -v5
	v_fma_f16 v4, v4, 2.0, -v3
	v_pack_b32_f16 v3, v5, v3
	s_delay_alu instid0(VALU_DEP_2)
	v_pack_b32_f16 v2, v2, v4
	ds_store_2addr_stride64_b32 v58, v1, v2 offset0:4 offset1:6
	ds_load_2addr_stride64_b32 v[1:2], v58 offset0:8 offset1:10
	s_wait_dscnt 0x0
	v_lshrrev_b32_e32 v5, 16, v1
	v_sub_f16_e32 v4, v1, v9
	s_delay_alu instid0(VALU_DEP_2) | instskip(NEXT) | instid1(VALU_DEP_2)
	v_sub_f16_e32 v6, v5, v10
	v_fma_f16 v1, v1, 2.0, -v4
	s_delay_alu instid0(VALU_DEP_2) | instskip(SKIP_4) | instid1(VALU_DEP_2)
	v_pack_b32_f16 v7, v4, v6
	v_lshrrev_b32_e32 v4, 16, v2
	ds_store_2addr_stride64_b32 v58, v3, v7 offset0:36 offset1:38
	v_fma_f16 v3, v5, 2.0, -v6
	v_sub_f16_e32 v5, v2, v12
	v_pack_b32_f16 v1, v1, v3
	v_sub_f16_e32 v3, v4, v11
	s_delay_alu instid0(VALU_DEP_3) | instskip(NEXT) | instid1(VALU_DEP_2)
	v_fma_f16 v2, v2, 2.0, -v5
	v_fma_f16 v4, v4, 2.0, -v3
	v_pack_b32_f16 v3, v5, v3
	s_delay_alu instid0(VALU_DEP_2)
	v_pack_b32_f16 v2, v2, v4
	ds_store_2addr_stride64_b32 v58, v1, v2 offset0:8 offset1:10
	ds_load_2addr_stride64_b32 v[1:2], v58 offset0:12 offset1:14
	s_wait_dscnt 0x0
	v_lshrrev_b32_e32 v5, 16, v1
	v_sub_f16_e32 v4, v1, v13
	s_delay_alu instid0(VALU_DEP_2) | instskip(NEXT) | instid1(VALU_DEP_2)
	v_sub_f16_e32 v6, v5, v14
	v_fma_f16 v1, v1, 2.0, -v4
	s_delay_alu instid0(VALU_DEP_2) | instskip(SKIP_4) | instid1(VALU_DEP_2)
	;; [unrolled: 22-line block ×3, first 2 shown]
	v_pack_b32_f16 v7, v4, v6
	v_lshrrev_b32_e32 v4, 16, v2
	ds_store_2addr_stride64_b32 v58, v3, v7 offset0:44 offset1:46
	v_fma_f16 v3, v5, 2.0, -v6
	v_sub_f16_e32 v5, v2, v24
	v_pack_b32_f16 v1, v1, v3
	v_sub_f16_e32 v3, v4, v23
	s_delay_alu instid0(VALU_DEP_3) | instskip(NEXT) | instid1(VALU_DEP_2)
	v_fma_f16 v2, v2, 2.0, -v5
	v_fma_f16 v4, v4, 2.0, -v3
	v_pack_b32_f16 v3, v5, v3
	s_delay_alu instid0(VALU_DEP_2)
	v_pack_b32_f16 v2, v2, v4
	ds_store_2addr_stride64_b32 v58, v1, v2 offset0:16 offset1:18
	ds_load_2addr_stride64_b32 v[1:2], v58 offset0:20 offset1:22
	s_wait_dscnt 0x0
	v_lshrrev_b32_e32 v5, 16, v1
	v_sub_f16_e32 v4, v1, v25
	v_lshrrev_b32_e32 v25, 16, v177
	s_delay_alu instid0(VALU_DEP_3) | instskip(NEXT) | instid1(VALU_DEP_3)
	v_sub_f16_e32 v6, v5, v26
	v_fma_f16 v1, v1, 2.0, -v4
	s_delay_alu instid0(VALU_DEP_2)
	v_pack_b32_f16 v7, v4, v6
	v_lshrrev_b32_e32 v4, 16, v2
	ds_store_2addr_stride64_b32 v58, v3, v7 offset0:48 offset1:50
	v_fma_f16 v3, v5, 2.0, -v6
	v_sub_f16_e32 v5, v2, v28
	v_lshrrev_b32_e32 v28, 16, v182
	s_delay_alu instid0(VALU_DEP_3) | instskip(SKIP_1) | instid1(VALU_DEP_4)
	v_pack_b32_f16 v1, v1, v3
	v_sub_f16_e32 v3, v4, v27
	v_fma_f16 v2, v2, 2.0, -v5
	v_lshrrev_b32_e32 v27, 16, v172
	s_delay_alu instid0(VALU_DEP_3) | instskip(SKIP_1) | instid1(VALU_DEP_2)
	v_fma_f16 v4, v4, 2.0, -v3
	v_pack_b32_f16 v3, v5, v3
	v_pack_b32_f16 v2, v2, v4
	ds_store_2addr_stride64_b32 v58, v1, v2 offset0:20 offset1:22
	ds_load_2addr_stride64_b32 v[1:2], v58 offset0:24 offset1:26
	s_wait_dscnt 0x0
	v_lshrrev_b32_e32 v5, 16, v1
	v_sub_f16_e32 v4, v1, v29
	v_lshrrev_b32_e32 v29, 16, v178
	s_delay_alu instid0(VALU_DEP_3) | instskip(NEXT) | instid1(VALU_DEP_3)
	v_sub_f16_e32 v6, v5, v30
	v_fma_f16 v1, v1, 2.0, -v4
	v_lshrrev_b32_e32 v30, 16, v219
	s_delay_alu instid0(VALU_DEP_3) | instskip(SKIP_4) | instid1(VALU_DEP_2)
	v_pack_b32_f16 v7, v4, v6
	v_lshrrev_b32_e32 v4, 16, v2
	ds_store_2addr_stride64_b32 v58, v3, v7 offset0:52 offset1:54
	v_fma_f16 v3, v5, 2.0, -v6
	v_sub_f16_e32 v5, v2, v32
	v_pack_b32_f16 v1, v1, v3
	v_sub_f16_e32 v3, v4, v31
	s_delay_alu instid0(VALU_DEP_3) | instskip(SKIP_1) | instid1(VALU_DEP_3)
	v_fma_f16 v2, v2, 2.0, -v5
	v_lshrrev_b32_e32 v31, 16, v186
	v_fma_f16 v4, v4, 2.0, -v3
	s_delay_alu instid0(VALU_DEP_1) | instskip(SKIP_4) | instid1(VALU_DEP_2)
	v_pack_b32_f16 v2, v2, v4
	v_pack_b32_f16 v4, v36, v35
	ds_store_2addr_stride64_b32 v58, v1, v2 offset0:24 offset1:26
	v_lshrrev_b32_e32 v2, 16, v0
	v_sub_f16_e32 v1, v0, v33
	v_sub_f16_e32 v6, v2, v34
	s_delay_alu instid0(VALU_DEP_2) | instskip(NEXT) | instid1(VALU_DEP_2)
	v_fma_f16 v0, v0, 2.0, -v1
	v_fma_f16 v2, v2, 2.0, -v6
	v_pack_b32_f16 v1, v1, v6
	s_delay_alu instid0(VALU_DEP_2)
	v_pack_b32_f16 v0, v0, v2
	ds_store_2addr_stride64_b32 v58, v0, v4 offset0:28 offset1:30
	v_pack_b32_f16 v0, v5, v3
	v_lshlrev_b64_e32 v[3:4], 2, v[16:17]
	v_lshlrev_b64_e32 v[5:6], 2, v[18:19]
	ds_store_2addr_stride64_b32 v58, v0, v1 offset0:56 offset1:58
	global_wb scope:SCOPE_SE
	s_wait_dscnt 0x0
	s_barrier_signal -1
	s_barrier_wait -1
	global_inv scope:SCOPE_SE
	ds_load_2addr_stride64_b32 v[1:2], v58 offset1:2
	v_add_co_u32 v0, vcc_lo, s0, v3
	s_wait_alu 0xfffd
	v_add_co_ci_u32_e32 v3, vcc_lo, s1, v4, vcc_lo
	ds_load_2addr_stride64_b32 v[8:9], v58 offset0:4 offset1:6
	v_add_co_u32 v15, vcc_lo, v0, v5
	s_wait_alu 0xfffd
	v_add_co_ci_u32_e32 v16, vcc_lo, v3, v6, vcc_lo
	ds_load_2addr_stride64_b32 v[13:14], v58 offset0:12 offset1:14
	s_clause 0x9
	scratch_load_b32 v32, off, off offset:176 th:TH_LOAD_LU
	scratch_load_b32 v34, off, off offset:180 th:TH_LOAD_LU
	;; [unrolled: 1-line block ×10, first 2 shown]
	s_wait_dscnt 0x2
	v_lshrrev_b32_e32 v0, 16, v1
	v_mul_f16_e32 v3, v25, v1
	s_wait_dscnt 0x1
	v_lshrrev_b32_e32 v20, 16, v9
	s_delay_alu instid0(VALU_DEP_2) | instskip(SKIP_3) | instid1(VALU_DEP_3)
	v_fma_f16 v3, v177, v0, -v3
	v_mul_f16_e32 v0, v25, v0
	s_wait_dscnt 0x0
	v_lshrrev_b32_e32 v12, 16, v13
	v_cvt_f32_f16_e32 v3, v3
	s_delay_alu instid0(VALU_DEP_3) | instskip(NEXT) | instid1(VALU_DEP_2)
	v_fmac_f16_e64 v0, v177, v1
	v_cvt_f64_f32_e32 v[3:4], v3
	s_delay_alu instid0(VALU_DEP_2) | instskip(NEXT) | instid1(VALU_DEP_1)
	v_cvt_f32_f16_e32 v0, v0
	v_cvt_f64_f32_e32 v[0:1], v0
	s_wait_alu 0xfffe
	s_delay_alu instid0(VALU_DEP_3) | instskip(NEXT) | instid1(VALU_DEP_2)
	v_mul_f64_e32 v[5:6], s[6:7], v[3:4]
	v_mul_f64_e32 v[0:1], s[6:7], v[0:1]
	s_delay_alu instid0(VALU_DEP_2) | instskip(SKIP_3) | instid1(VALU_DEP_4)
	v_and_or_b32 v3, 0x1ff, v6, v5
	v_lshrrev_b32_e32 v4, 8, v6
	v_bfe_u32 v10, v6, 20, 11
	v_lshrrev_b32_e32 v6, 16, v6
	v_cmp_ne_u32_e32 vcc_lo, 0, v3
	v_and_or_b32 v0, 0x1ff, v1, v0
	s_wait_alu 0xfffd
	v_cndmask_b32_e64 v3, 0, 1, vcc_lo
	s_delay_alu instid0(VALU_DEP_2) | instskip(NEXT) | instid1(VALU_DEP_2)
	v_cmp_ne_u32_e64 s2, 0, v0
	v_and_or_b32 v7, 0xffe, v4, v3
	v_sub_nc_u32_e32 v3, 0x3f1, v10
	s_wait_alu 0xf1ff
	s_delay_alu instid0(VALU_DEP_3) | instskip(NEXT) | instid1(VALU_DEP_3)
	v_cndmask_b32_e64 v0, 0, 1, s2
	v_or_b32_e32 v4, 0x1000, v7
	s_delay_alu instid0(VALU_DEP_3) | instskip(NEXT) | instid1(VALU_DEP_1)
	v_med3_i32 v3, v3, 0, 13
	v_lshrrev_b32_e32 v19, v3, v4
	s_delay_alu instid0(VALU_DEP_1) | instskip(NEXT) | instid1(VALU_DEP_1)
	v_lshlrev_b32_e32 v3, v3, v19
	v_cmp_ne_u32_e64 s1, v3, v4
	v_mul_f16_e32 v3, v27, v9
	s_delay_alu instid0(VALU_DEP_1) | instskip(NEXT) | instid1(VALU_DEP_1)
	v_fma_f16 v3, v172, v20, -v3
	v_cvt_f32_f16_e32 v3, v3
	s_delay_alu instid0(VALU_DEP_1) | instskip(NEXT) | instid1(VALU_DEP_1)
	v_cvt_f64_f32_e32 v[3:4], v3
	v_mul_f64_e32 v[17:18], s[6:7], v[3:4]
	s_delay_alu instid0(VALU_DEP_1) | instskip(SKIP_2) | instid1(VALU_DEP_3)
	v_and_or_b32 v3, 0x1ff, v18, v17
	v_lshrrev_b32_e32 v4, 8, v18
	v_bfe_u32 v21, v18, 20, 11
	v_cmp_ne_u32_e32 vcc_lo, 0, v3
	s_wait_alu 0xfffd
	v_cndmask_b32_e64 v3, 0, 1, vcc_lo
	s_delay_alu instid0(VALU_DEP_1) | instskip(SKIP_1) | instid1(VALU_DEP_2)
	v_and_or_b32 v17, 0xffe, v4, v3
	v_sub_nc_u32_e32 v3, 0x3f1, v21
	v_or_b32_e32 v4, 0x1000, v17
	s_delay_alu instid0(VALU_DEP_2) | instskip(NEXT) | instid1(VALU_DEP_1)
	v_med3_i32 v3, v3, 0, 13
	v_lshrrev_b32_e32 v22, v3, v4
	s_delay_alu instid0(VALU_DEP_1) | instskip(NEXT) | instid1(VALU_DEP_1)
	v_lshlrev_b32_e32 v3, v3, v22
	v_cmp_ne_u32_e64 s0, v3, v4
	v_mul_f16_e32 v3, v28, v13
	s_delay_alu instid0(VALU_DEP_1) | instskip(SKIP_1) | instid1(VALU_DEP_2)
	v_fma_f16 v3, v182, v12, -v3
	v_mul_f16_e32 v12, v28, v12
	v_cvt_f32_f16_e32 v3, v3
	s_delay_alu instid0(VALU_DEP_2) | instskip(NEXT) | instid1(VALU_DEP_2)
	v_fmac_f16_e64 v12, v182, v13
	v_cvt_f64_f32_e32 v[3:4], v3
	s_delay_alu instid0(VALU_DEP_2) | instskip(NEXT) | instid1(VALU_DEP_1)
	v_cvt_f32_f16_e32 v12, v12
	v_cvt_f64_f32_e32 v[12:13], v12
	s_delay_alu instid0(VALU_DEP_3) | instskip(NEXT) | instid1(VALU_DEP_2)
	v_mul_f64_e32 v[3:4], s[6:7], v[3:4]
	v_mul_f64_e32 v[12:13], s[6:7], v[12:13]
	s_delay_alu instid0(VALU_DEP_2) | instskip(SKIP_1) | instid1(VALU_DEP_2)
	v_and_or_b32 v3, 0x1ff, v4, v3
	v_lshrrev_b32_e32 v5, 8, v4
	v_cmp_ne_u32_e32 vcc_lo, 0, v3
	s_delay_alu instid0(VALU_DEP_4) | instskip(SKIP_2) | instid1(VALU_DEP_1)
	v_and_or_b32 v12, 0x1ff, v13, v12
	s_wait_alu 0xfffd
	v_cndmask_b32_e64 v3, 0, 1, vcc_lo
	v_and_or_b32 v3, 0xffe, v5, v3
	v_bfe_u32 v5, v4, 20, 11
	v_lshrrev_b32_e32 v4, 16, v4
	s_delay_alu instid0(VALU_DEP_3) | instskip(NEXT) | instid1(VALU_DEP_3)
	v_or_b32_e32 v24, 0x1000, v3
	v_sub_nc_u32_e32 v11, 0x3f1, v5
	v_add_nc_u32_e32 v5, 0xfffffc10, v5
	s_delay_alu instid0(VALU_DEP_2) | instskip(NEXT) | instid1(VALU_DEP_1)
	v_med3_i32 v23, v11, 0, 13
	v_lshrrev_b32_e32 v11, v23, v24
	s_delay_alu instid0(VALU_DEP_1) | instskip(NEXT) | instid1(VALU_DEP_1)
	v_lshlrev_b32_e32 v23, v23, v11
	v_cmp_ne_u32_e32 vcc_lo, v23, v24
	v_lshrrev_b32_e32 v23, 8, v1
	s_delay_alu instid0(VALU_DEP_1) | instskip(SKIP_2) | instid1(VALU_DEP_3)
	v_and_or_b32 v0, 0xffe, v23, v0
	v_bfe_u32 v23, v1, 20, 11
	v_lshrrev_b32_e32 v1, 16, v1
	v_or_b32_e32 v25, 0x1000, v0
	s_delay_alu instid0(VALU_DEP_3) | instskip(SKIP_1) | instid1(VALU_DEP_2)
	v_sub_nc_u32_e32 v24, 0x3f1, v23
	v_add_nc_u32_e32 v23, 0xfffffc10, v23
	v_med3_i32 v24, v24, 0, 13
	s_delay_alu instid0(VALU_DEP_1) | instskip(NEXT) | instid1(VALU_DEP_1)
	v_lshrrev_b32_e32 v26, v24, v25
	v_lshlrev_b32_e32 v24, v24, v26
	s_delay_alu instid0(VALU_DEP_1) | instskip(SKIP_2) | instid1(VALU_DEP_2)
	v_cmp_ne_u32_e64 s2, v24, v25
	v_lshl_or_b32 v25, v23, 12, v0
	s_wait_alu 0xf1ff
	v_cndmask_b32_e64 v24, 0, 1, s2
	v_cmp_gt_i32_e64 s2, 1, v23
	s_delay_alu instid0(VALU_DEP_2) | instskip(SKIP_1) | instid1(VALU_DEP_1)
	v_or_b32_e32 v24, v26, v24
	s_wait_alu 0xf1ff
	v_cndmask_b32_e64 v24, v25, v24, s2
	s_delay_alu instid0(VALU_DEP_1) | instskip(NEXT) | instid1(VALU_DEP_1)
	v_and_b32_e32 v25, 7, v24
	v_cmp_lt_i32_e64 s2, 5, v25
	v_cmp_eq_u32_e64 s3, 3, v25
	v_cndmask_b32_e64 v25, 0, 1, s1
	v_cmp_ne_u32_e64 s1, 0, v0
	v_add_nc_u32_e32 v0, 0xfffffc10, v10
	s_delay_alu instid0(VALU_DEP_4) | instskip(NEXT) | instid1(VALU_DEP_3)
	s_or_b32 s2, s3, s2
	v_or_b32_e32 v19, v19, v25
	v_cmp_ne_u32_e64 s3, 0, v7
	s_delay_alu instid0(VALU_DEP_3) | instskip(SKIP_1) | instid1(VALU_DEP_1)
	v_lshl_or_b32 v10, v0, 12, v7
	v_cmp_gt_i32_e64 s4, 1, v0
	v_cndmask_b32_e64 v10, v10, v19, s4
	v_lshrrev_b32_e32 v19, 2, v24
	v_cndmask_b32_e64 v24, 0, 1, s1
	v_cmp_eq_u32_e64 s1, 0x40f, v23
	v_cmp_gt_i32_e64 s4, 1, v5
	v_lshrrev_b32_e32 v7, 2, v10
	s_wait_alu 0xfffe
	v_add_co_ci_u32_e64 v19, s2, 0, v19, s2
	v_cmp_gt_i32_e64 s2, 31, v23
	v_lshl_or_b32 v24, v24, 9, 0x7c00
	v_and_b32_e32 v23, 7, v10
	s_wait_alu 0xf1ff
	v_cndmask_b32_e64 v10, 0, 1, s3
	v_cndmask_b32_e64 v19, 0x7c00, v19, s2
	s_delay_alu instid0(VALU_DEP_3) | instskip(NEXT) | instid1(VALU_DEP_3)
	v_cmp_eq_u32_e64 s2, 3, v23
	v_lshl_or_b32 v10, v10, 9, 0x7c00
	s_delay_alu instid0(VALU_DEP_3) | instskip(SKIP_1) | instid1(VALU_DEP_2)
	v_cndmask_b32_e64 v19, v19, v24, s1
	v_cmp_lt_i32_e64 s1, 5, v23
	v_and_or_b32 v1, 0x8000, v1, v19
	s_delay_alu instid0(VALU_DEP_2)
	s_or_b32 s1, s2, s1
	s_wait_alu 0xfffe
	v_add_co_ci_u32_e64 v7, s1, 0, v7, s1
	v_cmp_gt_i32_e64 s1, 31, v0
	v_and_b32_e32 v1, 0xffff, v1
	s_wait_alu 0xf1ff
	s_delay_alu instid0(VALU_DEP_2) | instskip(SKIP_2) | instid1(VALU_DEP_1)
	v_cndmask_b32_e64 v7, 0x7c00, v7, s1
	v_cmp_eq_u32_e64 s1, 0x40f, v0
	s_wait_alu 0xf1ff
	v_cndmask_b32_e64 v0, v7, v10, s1
	s_delay_alu instid0(VALU_DEP_1) | instskip(SKIP_1) | instid1(VALU_DEP_2)
	v_and_or_b32 v0, 0x8000, v6, v0
	v_mul_f16_e32 v6, v27, v20
	v_lshl_or_b32 v0, v0, 16, v1
	s_delay_alu instid0(VALU_DEP_2)
	v_fmac_f16_e64 v6, v172, v9
	global_store_b32 v[15:16], v0, off
	v_cvt_f32_f16_e32 v6, v6
	v_add_co_u32 v0, s1, v15, s10
	s_wait_alu 0xf1ff
	v_add_co_ci_u32_e64 v1, s1, s11, v16, s1
	s_delay_alu instid0(VALU_DEP_3) | instskip(NEXT) | instid1(VALU_DEP_1)
	v_cvt_f64_f32_e32 v[6:7], v6
	v_mul_f64_e32 v[6:7], s[6:7], v[6:7]
	s_delay_alu instid0(VALU_DEP_1) | instskip(SKIP_1) | instid1(VALU_DEP_2)
	v_and_or_b32 v6, 0x1ff, v7, v6
	v_lshrrev_b32_e32 v9, 8, v7
	v_cmp_ne_u32_e64 s1, 0, v6
	s_wait_alu 0xf1ff
	s_delay_alu instid0(VALU_DEP_1) | instskip(NEXT) | instid1(VALU_DEP_1)
	v_cndmask_b32_e64 v6, 0, 1, s1
	v_and_or_b32 v6, 0xffe, v9, v6
	v_bfe_u32 v9, v7, 20, 11
	v_lshrrev_b32_e32 v7, 16, v7
	s_delay_alu instid0(VALU_DEP_3) | instskip(NEXT) | instid1(VALU_DEP_3)
	v_or_b32_e32 v15, 0x1000, v6
	v_sub_nc_u32_e32 v10, 0x3f1, v9
	v_add_nc_u32_e32 v9, 0xfffffc10, v9
	s_delay_alu instid0(VALU_DEP_2) | instskip(NEXT) | instid1(VALU_DEP_1)
	v_med3_i32 v10, v10, 0, 13
	v_lshrrev_b32_e32 v16, v10, v15
	s_delay_alu instid0(VALU_DEP_1) | instskip(NEXT) | instid1(VALU_DEP_1)
	v_lshlrev_b32_e32 v10, v10, v16
	v_cmp_ne_u32_e64 s1, v10, v15
	v_lshl_or_b32 v15, v9, 12, v6
	s_wait_alu 0xf1ff
	s_delay_alu instid0(VALU_DEP_2) | instskip(SKIP_1) | instid1(VALU_DEP_2)
	v_cndmask_b32_e64 v10, 0, 1, s1
	v_cmp_gt_i32_e64 s1, 1, v9
	v_or_b32_e32 v10, v16, v10
	s_wait_alu 0xf1ff
	s_delay_alu instid0(VALU_DEP_1) | instskip(NEXT) | instid1(VALU_DEP_1)
	v_cndmask_b32_e64 v10, v15, v10, s1
	v_and_b32_e32 v15, 7, v10
	v_lshrrev_b32_e32 v10, 2, v10
	s_delay_alu instid0(VALU_DEP_2) | instskip(SKIP_4) | instid1(VALU_DEP_4)
	v_cmp_lt_i32_e64 s1, 5, v15
	v_cmp_eq_u32_e64 s2, 3, v15
	v_cndmask_b32_e64 v15, 0, 1, s0
	v_cmp_ne_u32_e64 s0, 0, v6
	v_add_nc_u32_e32 v6, 0xfffffc10, v21
	s_or_b32 s1, s2, s1
	s_delay_alu instid0(VALU_DEP_3)
	v_or_b32_e32 v15, v22, v15
	s_wait_alu 0xfffe
	v_add_co_ci_u32_e64 v10, s1, 0, v10, s1
	v_lshl_or_b32 v16, v6, 12, v17
	v_cmp_gt_i32_e64 s3, 1, v6
	v_cmp_gt_i32_e64 s1, 31, v9
	v_cmp_ne_u32_e64 s2, 0, v17
	s_wait_alu 0xf1ff
	s_delay_alu instid0(VALU_DEP_3) | instskip(SKIP_3) | instid1(VALU_DEP_3)
	v_cndmask_b32_e64 v15, v16, v15, s3
	v_cndmask_b32_e64 v16, 0, 1, s0
	v_cndmask_b32_e64 v10, 0x7c00, v10, s1
	v_cmp_eq_u32_e64 s0, 0x40f, v9
	v_lshl_or_b32 v16, v16, 9, 0x7c00
	s_wait_alu 0xf1ff
	s_delay_alu instid0(VALU_DEP_1) | instskip(SKIP_1) | instid1(VALU_DEP_2)
	v_cndmask_b32_e64 v9, v10, v16, s0
	v_and_b32_e32 v10, 7, v15
	v_and_or_b32 v7, 0x8000, v7, v9
	s_delay_alu instid0(VALU_DEP_2) | instskip(SKIP_4) | instid1(VALU_DEP_4)
	v_cmp_lt_i32_e64 s0, 5, v10
	v_cmp_eq_u32_e64 s1, 3, v10
	v_lshrrev_b32_e32 v10, 2, v15
	v_cndmask_b32_e64 v15, 0, 1, s2
	v_and_b32_e32 v7, 0xffff, v7
	s_or_b32 s0, s1, s0
	s_wait_alu 0xfffe
	v_add_co_ci_u32_e64 v10, s0, 0, v10, s0
	v_cmp_gt_i32_e64 s0, 31, v6
	v_lshl_or_b32 v15, v15, 9, 0x7c00
	s_wait_alu 0xf1ff
	s_delay_alu instid0(VALU_DEP_2) | instskip(SKIP_2) | instid1(VALU_DEP_1)
	v_cndmask_b32_e64 v10, 0x7c00, v10, s0
	v_cmp_eq_u32_e64 s0, 0x40f, v6
	s_wait_alu 0xf1ff
	v_cndmask_b32_e64 v6, v10, v15, s0
	v_lshrrev_b32_e32 v10, 16, v18
	v_add_co_u32 v19, s0, v0, s10
	s_wait_alu 0xf1ff
	v_add_co_ci_u32_e64 v20, s0, s11, v1, s0
	s_delay_alu instid0(VALU_DEP_3)
	v_and_or_b32 v6, 0x8000, v10, v6
	ds_load_2addr_stride64_b32 v[9:10], v58 offset0:24 offset1:26
	v_lshl_or_b32 v6, v6, 16, v7
	global_store_b32 v[0:1], v6, off
	ds_load_2addr_stride64_b32 v[6:7], v58 offset0:16 offset1:18
	s_wait_dscnt 0x0
	v_lshrrev_b32_e32 v23, 16, v7
	v_mul_f16_e32 v0, v29, v7
	s_delay_alu instid0(VALU_DEP_1) | instskip(NEXT) | instid1(VALU_DEP_1)
	v_fma_f16 v0, v178, v23, -v0
	v_cvt_f32_f16_e32 v0, v0
	s_delay_alu instid0(VALU_DEP_1) | instskip(NEXT) | instid1(VALU_DEP_1)
	v_cvt_f64_f32_e32 v[0:1], v0
	v_mul_f64_e32 v[15:16], s[6:7], v[0:1]
	s_delay_alu instid0(VALU_DEP_1)
	v_and_or_b32 v0, 0x1ff, v16, v15
	v_lshrrev_b32_e32 v1, 8, v16
	v_bfe_u32 v26, v16, 20, 11
	v_lshrrev_b32_e32 v15, 16, v9
	v_lshrrev_b32_e32 v16, 16, v16
	v_cmp_ne_u32_e64 s0, 0, v0
	s_wait_alu 0xf1ff
	s_delay_alu instid0(VALU_DEP_1) | instskip(NEXT) | instid1(VALU_DEP_1)
	v_cndmask_b32_e64 v0, 0, 1, s0
	v_and_or_b32 v25, 0xffe, v1, v0
	v_sub_nc_u32_e32 v0, 0x3f1, v26
	s_delay_alu instid0(VALU_DEP_2) | instskip(NEXT) | instid1(VALU_DEP_2)
	v_or_b32_e32 v1, 0x1000, v25
	v_med3_i32 v0, v0, 0, 13
	s_delay_alu instid0(VALU_DEP_1) | instskip(NEXT) | instid1(VALU_DEP_1)
	v_lshrrev_b32_e32 v27, v0, v1
	v_lshlrev_b32_e32 v0, v0, v27
	s_delay_alu instid0(VALU_DEP_1) | instskip(SKIP_1) | instid1(VALU_DEP_1)
	v_cmp_ne_u32_e64 s2, v0, v1
	v_mul_f16_e32 v0, v31, v9
	v_fma_f16 v0, v186, v15, -v0
	s_delay_alu instid0(VALU_DEP_1) | instskip(NEXT) | instid1(VALU_DEP_1)
	v_cvt_f32_f16_e32 v0, v0
	v_cvt_f64_f32_e32 v[0:1], v0
	s_delay_alu instid0(VALU_DEP_1) | instskip(NEXT) | instid1(VALU_DEP_1)
	v_mul_f64_e32 v[0:1], s[6:7], v[0:1]
	v_and_or_b32 v0, 0x1ff, v1, v0
	v_lshrrev_b32_e32 v17, 8, v1
	s_delay_alu instid0(VALU_DEP_2) | instskip(SKIP_1) | instid1(VALU_DEP_1)
	v_cmp_ne_u32_e64 s0, 0, v0
	s_wait_alu 0xf1ff
	v_cndmask_b32_e64 v0, 0, 1, s0
	v_cmp_ne_u32_e64 s0, 0, v12
	s_delay_alu instid0(VALU_DEP_2) | instskip(SKIP_2) | instid1(VALU_DEP_3)
	v_and_or_b32 v0, 0xffe, v17, v0
	v_bfe_u32 v17, v1, 20, 11
	s_wait_alu 0xf1ff
	v_cndmask_b32_e64 v12, 0, 1, s0
	v_lshrrev_b32_e32 v1, 16, v1
	v_or_b32_e32 v22, 0x1000, v0
	v_sub_nc_u32_e32 v18, 0x3f1, v17
	s_delay_alu instid0(VALU_DEP_1) | instskip(NEXT) | instid1(VALU_DEP_1)
	v_med3_i32 v21, v18, 0, 13
	v_lshrrev_b32_e32 v18, v21, v22
	s_delay_alu instid0(VALU_DEP_1) | instskip(NEXT) | instid1(VALU_DEP_1)
	v_lshlrev_b32_e32 v21, v21, v18
	v_cmp_ne_u32_e64 s1, v21, v22
	v_lshrrev_b32_e32 v21, 8, v13
	s_delay_alu instid0(VALU_DEP_1) | instskip(SKIP_1) | instid1(VALU_DEP_2)
	v_and_or_b32 v12, 0xffe, v21, v12
	v_bfe_u32 v21, v13, 20, 11
	v_or_b32_e32 v24, 0x1000, v12
	s_delay_alu instid0(VALU_DEP_2) | instskip(SKIP_1) | instid1(VALU_DEP_2)
	v_sub_nc_u32_e32 v22, 0x3f1, v21
	v_add_nc_u32_e32 v21, 0xfffffc10, v21
	v_med3_i32 v22, v22, 0, 13
	s_delay_alu instid0(VALU_DEP_1) | instskip(NEXT) | instid1(VALU_DEP_1)
	v_lshrrev_b32_e32 v28, v22, v24
	v_lshlrev_b32_e32 v22, v22, v28
	s_delay_alu instid0(VALU_DEP_1) | instskip(SKIP_2) | instid1(VALU_DEP_2)
	v_cmp_ne_u32_e64 s0, v22, v24
	v_lshl_or_b32 v24, v21, 12, v12
	s_wait_alu 0xf1ff
	v_cndmask_b32_e64 v22, 0, 1, s0
	v_cmp_gt_i32_e64 s0, 1, v21
	s_delay_alu instid0(VALU_DEP_2) | instskip(SKIP_1) | instid1(VALU_DEP_1)
	v_or_b32_e32 v22, v28, v22
	s_wait_alu 0xf1ff
	v_cndmask_b32_e64 v22, v24, v22, s0
	s_delay_alu instid0(VALU_DEP_1) | instskip(NEXT) | instid1(VALU_DEP_1)
	v_and_b32_e32 v24, 7, v22
	v_cmp_lt_i32_e64 s0, 5, v24
	v_cmp_eq_u32_e64 s3, 3, v24
	s_wait_alu 0xfffd
	v_cndmask_b32_e64 v24, 0, 1, vcc_lo
	v_cmp_ne_u32_e32 vcc_lo, 0, v12
	v_lshl_or_b32 v12, v5, 12, v3
	s_or_b32 s0, s3, s0
	s_delay_alu instid0(VALU_DEP_3) | instskip(SKIP_2) | instid1(VALU_DEP_3)
	v_or_b32_e32 v11, v11, v24
	v_cmp_ne_u32_e64 s3, 0, v3
	v_lshrrev_b32_e32 v3, 16, v13
	v_cndmask_b32_e64 v11, v12, v11, s4
	v_lshrrev_b32_e32 v12, 2, v22
	s_wait_alu 0xfffd
	v_cndmask_b32_e64 v22, 0, 1, vcc_lo
	v_cmp_eq_u32_e32 vcc_lo, 0x40f, v21
	s_wait_alu 0xf1ff
	v_cndmask_b32_e64 v13, 0, 1, s3
	s_wait_alu 0xfffe
	v_add_co_ci_u32_e64 v12, s0, 0, v12, s0
	v_cmp_gt_i32_e64 s0, 31, v21
	v_lshl_or_b32 v22, v22, 9, 0x7c00
	v_and_b32_e32 v21, 7, v11
	v_lshrrev_b32_e32 v11, 2, v11
	v_lshl_or_b32 v13, v13, 9, 0x7c00
	s_wait_alu 0xf1ff
	v_cndmask_b32_e64 v12, 0x7c00, v12, s0
	v_cmp_eq_u32_e64 s0, 3, v21
	s_wait_alu 0xfffd
	s_delay_alu instid0(VALU_DEP_2) | instskip(SKIP_1) | instid1(VALU_DEP_2)
	v_cndmask_b32_e32 v12, v12, v22, vcc_lo
	v_cmp_lt_i32_e32 vcc_lo, 5, v21
	v_and_or_b32 v3, 0x8000, v3, v12
	s_or_b32 vcc_lo, s0, vcc_lo
	s_wait_alu 0xfffe
	v_add_co_ci_u32_e32 v11, vcc_lo, 0, v11, vcc_lo
	v_cmp_gt_i32_e32 vcc_lo, 31, v5
	v_and_b32_e32 v3, 0xffff, v3
	s_wait_alu 0xfffd
	s_delay_alu instid0(VALU_DEP_3) | instskip(SKIP_2) | instid1(VALU_DEP_2)
	v_cndmask_b32_e32 v11, 0x7c00, v11, vcc_lo
	v_cmp_eq_u32_e32 vcc_lo, 0x40f, v5
	s_wait_alu 0xfffd
	v_cndmask_b32_e32 v5, v11, v13, vcc_lo
	v_add_co_u32 v21, vcc_lo, v19, s10
	s_wait_alu 0xfffd
	v_add_co_ci_u32_e32 v22, vcc_lo, s11, v20, vcc_lo
	s_delay_alu instid0(VALU_DEP_3) | instskip(NEXT) | instid1(VALU_DEP_1)
	v_and_or_b32 v4, 0x8000, v4, v5
	v_lshl_or_b32 v3, v4, 16, v3
	ds_load_2addr_stride64_b32 v[4:5], v58 offset0:28 offset1:30
	global_store_b32 v[19:20], v3, off
	s_wait_dscnt 0x0
	v_lshrrev_b32_e32 v20, 16, v5
	v_mul_f16_e32 v3, v30, v5
	s_delay_alu instid0(VALU_DEP_1) | instskip(SKIP_1) | instid1(VALU_DEP_2)
	v_fma_f16 v3, v219, v20, -v3
	v_mul_f16_e32 v20, v30, v20
	v_cvt_f32_f16_e32 v3, v3
	s_delay_alu instid0(VALU_DEP_2) | instskip(NEXT) | instid1(VALU_DEP_2)
	v_fmac_f16_e64 v20, v219, v5
	v_cvt_f64_f32_e32 v[11:12], v3
	s_delay_alu instid0(VALU_DEP_2) | instskip(NEXT) | instid1(VALU_DEP_2)
	v_cvt_f32_f16_e32 v5, v20
	v_mul_f64_e32 v[11:12], s[6:7], v[11:12]
	s_delay_alu instid0(VALU_DEP_1) | instskip(SKIP_2) | instid1(VALU_DEP_3)
	v_and_or_b32 v3, 0x1ff, v12, v11
	v_lshrrev_b32_e32 v11, 8, v12
	v_bfe_u32 v13, v12, 20, 11
	v_cmp_ne_u32_e32 vcc_lo, 0, v3
	s_wait_alu 0xfffd
	v_cndmask_b32_e64 v3, 0, 1, vcc_lo
	s_delay_alu instid0(VALU_DEP_1) | instskip(SKIP_1) | instid1(VALU_DEP_2)
	v_and_or_b32 v3, 0xffe, v11, v3
	v_sub_nc_u32_e32 v11, 0x3f1, v13
	v_or_b32_e32 v24, 0x1000, v3
	s_delay_alu instid0(VALU_DEP_2) | instskip(NEXT) | instid1(VALU_DEP_1)
	v_med3_i32 v11, v11, 0, 13
	v_lshrrev_b32_e32 v19, v11, v24
	s_delay_alu instid0(VALU_DEP_1) | instskip(NEXT) | instid1(VALU_DEP_1)
	v_lshlrev_b32_e32 v11, v11, v19
	v_cmp_ne_u32_e64 s0, v11, v24
	v_mul_f16_e32 v11, v29, v23
	s_delay_alu instid0(VALU_DEP_1) | instskip(NEXT) | instid1(VALU_DEP_1)
	v_fmac_f16_e64 v11, v178, v7
	v_cvt_f32_f16_e32 v7, v11
	s_delay_alu instid0(VALU_DEP_1) | instskip(NEXT) | instid1(VALU_DEP_1)
	v_cvt_f64_f32_e32 v[23:24], v7
	v_mul_f64_e32 v[23:24], s[6:7], v[23:24]
	s_delay_alu instid0(VALU_DEP_1) | instskip(SKIP_1) | instid1(VALU_DEP_2)
	v_and_or_b32 v7, 0x1ff, v24, v23
	v_lshrrev_b32_e32 v11, 8, v24
	v_cmp_ne_u32_e32 vcc_lo, 0, v7
	s_wait_alu 0xfffd
	v_cndmask_b32_e64 v7, 0, 1, vcc_lo
	s_delay_alu instid0(VALU_DEP_1) | instskip(SKIP_1) | instid1(VALU_DEP_2)
	v_and_or_b32 v7, 0xffe, v11, v7
	v_bfe_u32 v11, v24, 20, 11
	v_or_b32_e32 v28, 0x1000, v7
	s_delay_alu instid0(VALU_DEP_2) | instskip(SKIP_1) | instid1(VALU_DEP_2)
	v_sub_nc_u32_e32 v23, 0x3f1, v11
	v_add_nc_u32_e32 v11, 0xfffffc10, v11
	v_med3_i32 v23, v23, 0, 13
	s_delay_alu instid0(VALU_DEP_1) | instskip(NEXT) | instid1(VALU_DEP_1)
	v_lshrrev_b32_e32 v29, v23, v28
	v_lshlrev_b32_e32 v23, v23, v29
	s_delay_alu instid0(VALU_DEP_1) | instskip(SKIP_4) | instid1(VALU_DEP_2)
	v_cmp_ne_u32_e32 vcc_lo, v23, v28
	v_lshl_or_b32 v28, v11, 12, v7
	s_wait_alu 0xfffd
	v_cndmask_b32_e64 v23, 0, 1, vcc_lo
	v_cmp_gt_i32_e32 vcc_lo, 1, v11
	v_or_b32_e32 v23, v29, v23
	s_wait_alu 0xfffd
	s_delay_alu instid0(VALU_DEP_1) | instskip(NEXT) | instid1(VALU_DEP_1)
	v_cndmask_b32_e32 v23, v28, v23, vcc_lo
	v_and_b32_e32 v28, 7, v23
	v_lshrrev_b32_e32 v23, 2, v23
	s_delay_alu instid0(VALU_DEP_2) | instskip(SKIP_4) | instid1(VALU_DEP_4)
	v_cmp_lt_i32_e32 vcc_lo, 5, v28
	v_cmp_eq_u32_e64 s3, 3, v28
	v_cndmask_b32_e64 v28, 0, 1, s2
	v_cmp_ne_u32_e64 s2, 0, v7
	v_add_nc_u32_e32 v7, 0xfffffc10, v26
	s_or_b32 vcc_lo, s3, vcc_lo
	s_delay_alu instid0(VALU_DEP_3)
	v_or_b32_e32 v27, v27, v28
	s_wait_alu 0xfffe
	v_add_co_ci_u32_e32 v23, vcc_lo, 0, v23, vcc_lo
	v_lshl_or_b32 v26, v7, 12, v25
	v_cmp_gt_i32_e64 s4, 1, v7
	v_cmp_gt_i32_e32 vcc_lo, 31, v11
	v_cmp_ne_u32_e64 s3, 0, v25
	s_wait_alu 0xf1ff
	s_delay_alu instid0(VALU_DEP_3)
	v_cndmask_b32_e64 v26, v26, v27, s4
	v_cndmask_b32_e64 v27, 0, 1, s2
	s_wait_alu 0xfffd
	v_cndmask_b32_e32 v23, 0x7c00, v23, vcc_lo
	v_cmp_eq_u32_e32 vcc_lo, 0x40f, v11
	v_cndmask_b32_e64 v25, 0, 1, s3
	v_lshl_or_b32 v27, v27, 9, 0x7c00
	s_delay_alu instid0(VALU_DEP_2) | instskip(SKIP_1) | instid1(VALU_DEP_2)
	v_lshl_or_b32 v25, v25, 9, 0x7c00
	s_wait_alu 0xfffd
	v_cndmask_b32_e32 v11, v23, v27, vcc_lo
	v_lshrrev_b32_e32 v23, 16, v24
	v_and_b32_e32 v24, 7, v26
	s_delay_alu instid0(VALU_DEP_2) | instskip(NEXT) | instid1(VALU_DEP_2)
	v_and_or_b32 v11, 0x8000, v23, v11
	v_cmp_lt_i32_e32 vcc_lo, 5, v24
	v_cmp_eq_u32_e64 s2, 3, v24
	v_lshrrev_b32_e32 v24, 2, v26
	s_delay_alu instid0(VALU_DEP_4) | instskip(NEXT) | instid1(VALU_DEP_3)
	v_and_b32_e32 v11, 0xffff, v11
	s_or_b32 vcc_lo, s2, vcc_lo
	s_wait_alu 0xfffe
	s_delay_alu instid0(VALU_DEP_2) | instskip(SKIP_2) | instid1(VALU_DEP_2)
	v_add_co_ci_u32_e32 v24, vcc_lo, 0, v24, vcc_lo
	v_cmp_gt_i32_e32 vcc_lo, 31, v7
	s_wait_alu 0xfffd
	v_cndmask_b32_e32 v24, 0x7c00, v24, vcc_lo
	v_cmp_eq_u32_e32 vcc_lo, 0x40f, v7
	s_wait_alu 0xfffd
	s_delay_alu instid0(VALU_DEP_2) | instskip(NEXT) | instid1(VALU_DEP_1)
	v_cndmask_b32_e32 v7, v24, v25, vcc_lo
	v_and_or_b32 v7, 0x8000, v16, v7
	s_delay_alu instid0(VALU_DEP_1)
	v_lshl_or_b32 v7, v7, 16, v11
	global_store_b32 v[21:22], v7, off
	v_mul_f16_e32 v7, v31, v15
	v_add_co_u32 v21, vcc_lo, v21, s10
	s_wait_alu 0xfffd
	v_add_co_ci_u32_e32 v22, vcc_lo, s11, v22, vcc_lo
	s_delay_alu instid0(VALU_DEP_3) | instskip(NEXT) | instid1(VALU_DEP_1)
	v_fmac_f16_e64 v7, v186, v9
	v_cvt_f32_f16_e32 v7, v7
	s_delay_alu instid0(VALU_DEP_1) | instskip(NEXT) | instid1(VALU_DEP_1)
	v_cvt_f64_f32_e32 v[15:16], v7
	v_mul_f64_e32 v[15:16], s[6:7], v[15:16]
	s_delay_alu instid0(VALU_DEP_1) | instskip(SKIP_1) | instid1(VALU_DEP_2)
	v_and_or_b32 v7, 0x1ff, v16, v15
	v_lshrrev_b32_e32 v9, 8, v16
	v_cmp_ne_u32_e32 vcc_lo, 0, v7
	s_wait_alu 0xfffd
	v_cndmask_b32_e64 v7, 0, 1, vcc_lo
	s_delay_alu instid0(VALU_DEP_1) | instskip(SKIP_1) | instid1(VALU_DEP_2)
	v_and_or_b32 v7, 0xffe, v9, v7
	v_bfe_u32 v9, v16, 20, 11
	v_or_b32_e32 v15, 0x1000, v7
	s_delay_alu instid0(VALU_DEP_2) | instskip(SKIP_1) | instid1(VALU_DEP_2)
	v_sub_nc_u32_e32 v11, 0x3f1, v9
	v_add_nc_u32_e32 v9, 0xfffffc10, v9
	v_med3_i32 v11, v11, 0, 13
	s_delay_alu instid0(VALU_DEP_1) | instskip(NEXT) | instid1(VALU_DEP_1)
	v_lshrrev_b32_e32 v23, v11, v15
	v_lshlrev_b32_e32 v11, v11, v23
	s_delay_alu instid0(VALU_DEP_1) | instskip(SKIP_4) | instid1(VALU_DEP_2)
	v_cmp_ne_u32_e32 vcc_lo, v11, v15
	v_lshl_or_b32 v15, v9, 12, v7
	s_wait_alu 0xfffd
	v_cndmask_b32_e64 v11, 0, 1, vcc_lo
	v_cmp_gt_i32_e32 vcc_lo, 1, v9
	v_or_b32_e32 v11, v23, v11
	s_wait_alu 0xfffd
	s_delay_alu instid0(VALU_DEP_1) | instskip(NEXT) | instid1(VALU_DEP_1)
	v_cndmask_b32_e32 v11, v15, v11, vcc_lo
	v_and_b32_e32 v15, 7, v11
	v_lshrrev_b32_e32 v11, 2, v11
	s_delay_alu instid0(VALU_DEP_2) | instskip(SKIP_4) | instid1(VALU_DEP_4)
	v_cmp_lt_i32_e32 vcc_lo, 5, v15
	v_cmp_eq_u32_e64 s2, 3, v15
	v_cndmask_b32_e64 v15, 0, 1, s1
	v_cmp_ne_u32_e64 s1, 0, v7
	v_add_nc_u32_e32 v7, 0xfffffc10, v17
	s_or_b32 vcc_lo, s2, vcc_lo
	s_delay_alu instid0(VALU_DEP_3)
	v_or_b32_e32 v15, v18, v15
	s_wait_alu 0xfffe
	v_add_co_ci_u32_e32 v11, vcc_lo, 0, v11, vcc_lo
	v_lshl_or_b32 v17, v7, 12, v0
	v_cmp_gt_i32_e64 s3, 1, v7
	v_cmp_gt_i32_e32 vcc_lo, 31, v9
	v_cmp_ne_u32_e64 s2, 0, v0
	v_lshrrev_b32_e32 v0, 16, v16
	s_wait_alu 0xf1ff
	v_cndmask_b32_e64 v15, v17, v15, s3
	v_cndmask_b32_e64 v17, 0, 1, s1
	s_wait_alu 0xfffd
	v_cndmask_b32_e32 v11, 0x7c00, v11, vcc_lo
	v_cmp_eq_u32_e32 vcc_lo, 0x40f, v9
	s_delay_alu instid0(VALU_DEP_3) | instskip(SKIP_1) | instid1(VALU_DEP_1)
	v_lshl_or_b32 v17, v17, 9, 0x7c00
	s_wait_alu 0xfffd
	v_cndmask_b32_e32 v9, v11, v17, vcc_lo
	v_and_b32_e32 v11, 7, v15
	ds_load_2addr_stride64_b32 v[17:18], v58 offset0:36 offset1:38
	v_and_or_b32 v0, 0x8000, v0, v9
	v_cmp_lt_i32_e32 vcc_lo, 5, v11
	v_cmp_eq_u32_e64 s1, 3, v11
	v_lshrrev_b32_e32 v11, 2, v15
	v_cndmask_b32_e64 v15, 0, 1, s2
	v_and_b32_e32 v0, 0xffff, v0
	s_delay_alu instid0(VALU_DEP_4)
	s_or_b32 vcc_lo, s1, vcc_lo
	s_wait_alu 0xfffe
	v_add_co_ci_u32_e32 v11, vcc_lo, 0, v11, vcc_lo
	v_cmp_gt_i32_e32 vcc_lo, 31, v7
	v_lshl_or_b32 v15, v15, 9, 0x7c00
	s_wait_alu 0xfffd
	s_delay_alu instid0(VALU_DEP_3)
	v_cndmask_b32_e32 v11, 0x7c00, v11, vcc_lo
	v_cmp_eq_u32_e32 vcc_lo, 0x40f, v7
	s_wait_dscnt 0x0
	v_lshrrev_b32_e32 v9, 16, v17
	s_wait_alu 0xfffd
	v_cndmask_b32_e32 v7, v11, v15, vcc_lo
	s_delay_alu instid0(VALU_DEP_1) | instskip(NEXT) | instid1(VALU_DEP_1)
	v_and_or_b32 v1, 0x8000, v1, v7
	v_lshl_or_b32 v0, v1, 16, v0
	global_store_b32 v[21:22], v0, off
	s_wait_loadcnt 0x9
	v_mul_f16_e32 v0, v32, v17
	v_add_co_u32 v21, vcc_lo, v21, s10
	s_wait_alu 0xfffd
	v_add_co_ci_u32_e32 v22, vcc_lo, s11, v22, vcc_lo
	s_wait_loadcnt 0x8
	v_fma_f16 v0, v34, v9, -v0
	s_delay_alu instid0(VALU_DEP_1) | instskip(NEXT) | instid1(VALU_DEP_1)
	v_cvt_f32_f16_e32 v0, v0
	v_cvt_f64_f32_e32 v[0:1], v0
	s_delay_alu instid0(VALU_DEP_1) | instskip(NEXT) | instid1(VALU_DEP_1)
	v_mul_f64_e32 v[23:24], s[6:7], v[0:1]
	v_and_or_b32 v0, 0x1ff, v24, v23
	v_lshrrev_b32_e32 v1, 8, v24
	v_bfe_u32 v28, v24, 20, 11
	s_delay_alu instid0(VALU_DEP_3) | instskip(SKIP_2) | instid1(VALU_DEP_1)
	v_cmp_ne_u32_e32 vcc_lo, 0, v0
	s_wait_alu 0xfffd
	v_cndmask_b32_e64 v0, 0, 1, vcc_lo
	v_and_or_b32 v27, 0xffe, v1, v0
	v_sub_nc_u32_e32 v0, 0x3f1, v28
	s_delay_alu instid0(VALU_DEP_2) | instskip(NEXT) | instid1(VALU_DEP_2)
	v_or_b32_e32 v1, 0x1000, v27
	v_med3_i32 v0, v0, 0, 13
	s_delay_alu instid0(VALU_DEP_1) | instskip(NEXT) | instid1(VALU_DEP_1)
	v_lshrrev_b32_e32 v29, v0, v1
	v_lshlrev_b32_e32 v0, v0, v29
	s_delay_alu instid0(VALU_DEP_1)
	v_cmp_ne_u32_e64 s1, v0, v1
	ds_load_2addr_stride64_b32 v[0:1], v58 offset0:40 offset1:42
	s_wait_dscnt 0x0
	v_lshrrev_b32_e32 v7, 16, v1
	s_wait_loadcnt 0x7
	v_mul_f16_e32 v11, v37, v1
	s_wait_loadcnt 0x6
	s_delay_alu instid0(VALU_DEP_1) | instskip(SKIP_1) | instid1(VALU_DEP_2)
	v_fma_f16 v11, v33, v7, -v11
	v_mul_f16_e32 v7, v37, v7
	v_cvt_f32_f16_e32 v11, v11
	s_delay_alu instid0(VALU_DEP_2) | instskip(NEXT) | instid1(VALU_DEP_2)
	v_fmac_f16_e32 v7, v33, v1
	v_cvt_f64_f32_e32 v[15:16], v11
	s_delay_alu instid0(VALU_DEP_2) | instskip(NEXT) | instid1(VALU_DEP_2)
	v_cvt_f32_f16_e32 v1, v7
	v_mul_f64_e32 v[15:16], s[6:7], v[15:16]
	s_delay_alu instid0(VALU_DEP_1) | instskip(SKIP_1) | instid1(VALU_DEP_2)
	v_and_or_b32 v11, 0x1ff, v16, v15
	v_lshrrev_b32_e32 v15, 8, v16
	v_cmp_ne_u32_e32 vcc_lo, 0, v11
	s_wait_alu 0xfffd
	v_cndmask_b32_e64 v11, 0, 1, vcc_lo
	s_delay_alu instid0(VALU_DEP_1) | instskip(SKIP_1) | instid1(VALU_DEP_2)
	v_and_or_b32 v11, 0xffe, v15, v11
	v_bfe_u32 v15, v16, 20, 11
	v_or_b32_e32 v26, 0x1000, v11
	s_delay_alu instid0(VALU_DEP_2) | instskip(SKIP_1) | instid1(VALU_DEP_2)
	v_sub_nc_u32_e32 v23, 0x3f1, v15
	v_add_nc_u32_e32 v15, 0xfffffc10, v15
	v_med3_i32 v25, v23, 0, 13
	s_delay_alu instid0(VALU_DEP_1) | instskip(NEXT) | instid1(VALU_DEP_1)
	v_lshrrev_b32_e32 v23, v25, v26
	v_lshlrev_b32_e32 v25, v25, v23
	s_delay_alu instid0(VALU_DEP_1) | instskip(SKIP_1) | instid1(VALU_DEP_1)
	v_cmp_ne_u32_e32 vcc_lo, v25, v26
	v_cvt_f64_f32_e32 v[25:26], v5
	v_mul_f64_e32 v[25:26], s[6:7], v[25:26]
	s_delay_alu instid0(VALU_DEP_1) | instskip(SKIP_1) | instid1(VALU_DEP_2)
	v_and_or_b32 v5, 0x1ff, v26, v25
	v_lshrrev_b32_e32 v20, 8, v26
	v_cmp_ne_u32_e64 s2, 0, v5
	s_wait_alu 0xf1ff
	s_delay_alu instid0(VALU_DEP_1) | instskip(NEXT) | instid1(VALU_DEP_1)
	v_cndmask_b32_e64 v5, 0, 1, s2
	v_and_or_b32 v5, 0xffe, v20, v5
	v_bfe_u32 v20, v26, 20, 11
	s_delay_alu instid0(VALU_DEP_2) | instskip(NEXT) | instid1(VALU_DEP_2)
	v_or_b32_e32 v30, 0x1000, v5
	v_sub_nc_u32_e32 v25, 0x3f1, v20
	v_add_nc_u32_e32 v20, 0xfffffc10, v20
	s_delay_alu instid0(VALU_DEP_2) | instskip(NEXT) | instid1(VALU_DEP_1)
	v_med3_i32 v25, v25, 0, 13
	v_lshrrev_b32_e32 v31, v25, v30
	s_delay_alu instid0(VALU_DEP_1) | instskip(NEXT) | instid1(VALU_DEP_1)
	v_lshlrev_b32_e32 v25, v25, v31
	v_cmp_ne_u32_e64 s2, v25, v30
	v_lshl_or_b32 v30, v20, 12, v5
	s_wait_alu 0xf1ff
	s_delay_alu instid0(VALU_DEP_2) | instskip(SKIP_1) | instid1(VALU_DEP_2)
	v_cndmask_b32_e64 v25, 0, 1, s2
	v_cmp_gt_i32_e64 s2, 1, v20
	v_or_b32_e32 v25, v31, v25
	s_wait_alu 0xf1ff
	s_delay_alu instid0(VALU_DEP_1) | instskip(NEXT) | instid1(VALU_DEP_1)
	v_cndmask_b32_e64 v25, v30, v25, s2
	v_and_b32_e32 v30, 7, v25
	s_delay_alu instid0(VALU_DEP_1) | instskip(SKIP_4) | instid1(VALU_DEP_4)
	v_cmp_lt_i32_e64 s2, 5, v30
	v_cmp_eq_u32_e64 s3, 3, v30
	v_cndmask_b32_e64 v30, 0, 1, s0
	v_cmp_ne_u32_e64 s0, 0, v5
	v_add_nc_u32_e32 v5, 0xfffffc10, v13
	s_or_b32 s2, s3, s2
	s_delay_alu instid0(VALU_DEP_3) | instskip(SKIP_1) | instid1(VALU_DEP_3)
	v_or_b32_e32 v19, v19, v30
	v_cmp_ne_u32_e64 s3, 0, v3
	v_lshl_or_b32 v13, v5, 12, v3
	v_cmp_gt_i32_e64 s4, 1, v5
	s_wait_alu 0xf1ff
	s_delay_alu instid0(VALU_DEP_1) | instskip(SKIP_3) | instid1(VALU_DEP_4)
	v_cndmask_b32_e64 v13, v13, v19, s4
	v_lshrrev_b32_e32 v19, 2, v25
	v_cndmask_b32_e64 v25, 0, 1, s0
	v_cmp_eq_u32_e64 s0, 0x40f, v20
	v_lshrrev_b32_e32 v3, 2, v13
	s_wait_alu 0xfffe
	v_add_co_ci_u32_e64 v19, s2, 0, v19, s2
	v_cmp_gt_i32_e64 s2, 31, v20
	v_lshl_or_b32 v25, v25, 9, 0x7c00
	v_lshrrev_b32_e32 v20, 16, v26
	s_wait_alu 0xf1ff
	s_delay_alu instid0(VALU_DEP_3) | instskip(NEXT) | instid1(VALU_DEP_1)
	v_cndmask_b32_e64 v19, 0x7c00, v19, s2
	v_cndmask_b32_e64 v19, v19, v25, s0
	v_and_b32_e32 v25, 7, v13
	v_cndmask_b32_e64 v13, 0, 1, s3
	s_delay_alu instid0(VALU_DEP_2) | instskip(SKIP_1) | instid1(VALU_DEP_3)
	v_cmp_lt_i32_e64 s0, 5, v25
	v_cmp_eq_u32_e64 s2, 3, v25
	v_lshl_or_b32 v13, v13, 9, 0x7c00
	s_delay_alu instid0(VALU_DEP_2) | instskip(SKIP_4) | instid1(VALU_DEP_1)
	s_or_b32 s0, s2, s0
	s_wait_alu 0xfffe
	v_add_co_ci_u32_e64 v3, s0, 0, v3, s0
	v_cmp_gt_i32_e64 s0, 31, v5
	s_wait_alu 0xf1ff
	v_cndmask_b32_e64 v3, 0x7c00, v3, s0
	v_cmp_eq_u32_e64 s0, 0x40f, v5
	v_lshrrev_b32_e32 v5, 16, v12
	v_and_or_b32 v12, 0x8000, v20, v19
	s_wait_alu 0xf1ff
	s_delay_alu instid0(VALU_DEP_3) | instskip(NEXT) | instid1(VALU_DEP_1)
	v_cndmask_b32_e64 v3, v3, v13, s0
	v_and_or_b32 v3, 0x8000, v5, v3
	s_delay_alu instid0(VALU_DEP_3) | instskip(SKIP_3) | instid1(VALU_DEP_3)
	v_and_b32_e32 v5, 0xffff, v12
	v_add_co_u32 v12, s0, v21, s10
	s_wait_alu 0xf1ff
	v_add_co_ci_u32_e64 v13, s0, s11, v22, s0
	v_lshl_or_b32 v3, v3, 16, v5
	global_store_b32 v[21:22], v3, off
	v_mul_f16_e32 v3, v32, v9
	s_delay_alu instid0(VALU_DEP_1) | instskip(NEXT) | instid1(VALU_DEP_1)
	v_fmac_f16_e32 v3, v34, v17
	v_cvt_f32_f16_e32 v3, v3
	s_delay_alu instid0(VALU_DEP_1) | instskip(NEXT) | instid1(VALU_DEP_1)
	v_cvt_f64_f32_e32 v[19:20], v3
	v_mul_f64_e32 v[19:20], s[6:7], v[19:20]
	s_delay_alu instid0(VALU_DEP_1) | instskip(SKIP_1) | instid1(VALU_DEP_2)
	v_and_or_b32 v3, 0x1ff, v20, v19
	v_lshrrev_b32_e32 v5, 8, v20
	v_cmp_ne_u32_e64 s0, 0, v3
	s_wait_alu 0xf1ff
	s_delay_alu instid0(VALU_DEP_1) | instskip(NEXT) | instid1(VALU_DEP_1)
	v_cndmask_b32_e64 v3, 0, 1, s0
	v_and_or_b32 v3, 0xffe, v5, v3
	v_bfe_u32 v5, v20, 20, 11
	s_delay_alu instid0(VALU_DEP_2) | instskip(NEXT) | instid1(VALU_DEP_2)
	v_or_b32_e32 v17, 0x1000, v3
	v_sub_nc_u32_e32 v9, 0x3f1, v5
	v_add_nc_u32_e32 v5, 0xfffffc10, v5
	v_cmp_ne_u32_e64 s2, 0, v3
	s_delay_alu instid0(VALU_DEP_3) | instskip(NEXT) | instid1(VALU_DEP_1)
	v_med3_i32 v9, v9, 0, 13
	v_lshrrev_b32_e32 v19, v9, v17
	s_delay_alu instid0(VALU_DEP_1) | instskip(NEXT) | instid1(VALU_DEP_1)
	v_lshlrev_b32_e32 v9, v9, v19
	v_cmp_ne_u32_e64 s0, v9, v17
	v_lshl_or_b32 v17, v5, 12, v3
	s_wait_alu 0xf1ff
	s_delay_alu instid0(VALU_DEP_2) | instskip(SKIP_1) | instid1(VALU_DEP_2)
	v_cndmask_b32_e64 v9, 0, 1, s0
	v_cmp_gt_i32_e64 s0, 1, v5
	v_or_b32_e32 v9, v19, v9
	v_add_nc_u32_e32 v19, 0xfffffc10, v28
	s_wait_alu 0xf1ff
	s_delay_alu instid0(VALU_DEP_2) | instskip(SKIP_1) | instid1(VALU_DEP_3)
	v_cndmask_b32_e64 v9, v17, v9, s0
	v_cndmask_b32_e64 v17, 0, 1, s1
	v_lshl_or_b32 v21, v19, 12, v27
	v_cmp_gt_i32_e64 s0, 1, v19
	s_delay_alu instid0(VALU_DEP_3) | instskip(SKIP_1) | instid1(VALU_DEP_1)
	v_or_b32_e32 v17, v29, v17
	s_wait_alu 0xf1ff
	v_cndmask_b32_e64 v17, v21, v17, s0
	v_and_b32_e32 v21, 7, v9
	s_delay_alu instid0(VALU_DEP_2) | instskip(NEXT) | instid1(VALU_DEP_2)
	v_and_b32_e32 v3, 7, v17
	v_cmp_lt_i32_e64 s0, 5, v21
	v_cmp_eq_u32_e64 s1, 3, v21
	s_delay_alu instid0(VALU_DEP_3) | instskip(SKIP_2) | instid1(VALU_DEP_4)
	v_cmp_lt_i32_e64 s3, 5, v3
	v_cmp_eq_u32_e64 s4, 3, v3
	v_lshrrev_b32_e32 v3, 2, v9
	s_or_b32 s0, s1, s0
	v_cndmask_b32_e64 v9, 0, 1, s2
	s_delay_alu instid0(VALU_DEP_3)
	s_or_b32 s1, s4, s3
	s_wait_alu 0xfffe
	v_add_co_ci_u32_e64 v3, s0, 0, v3, s0
	v_cmp_gt_i32_e64 s0, 31, v5
	v_lshl_or_b32 v9, v9, 9, 0x7c00
	s_wait_alu 0xf1ff
	s_delay_alu instid0(VALU_DEP_2) | instskip(SKIP_3) | instid1(VALU_DEP_2)
	v_cndmask_b32_e64 v3, 0x7c00, v3, s0
	v_cmp_eq_u32_e64 s0, 0x40f, v5
	v_lshrrev_b32_e32 v5, 16, v20
	s_wait_alu 0xf1ff
	v_cndmask_b32_e64 v3, v3, v9, s0
	v_lshrrev_b32_e32 v9, 2, v17
	v_cmp_ne_u32_e64 s0, 0, v27
	s_delay_alu instid0(VALU_DEP_3) | instskip(NEXT) | instid1(VALU_DEP_3)
	v_and_or_b32 v3, 0x8000, v5, v3
	v_add_co_ci_u32_e64 v9, s1, 0, v9, s1
	v_cmp_gt_i32_e64 s1, 31, v19
	s_wait_alu 0xf1ff
	v_cndmask_b32_e64 v17, 0, 1, s0
	v_cmp_eq_u32_e64 s0, 0x40f, v19
	v_and_b32_e32 v3, 0xffff, v3
	v_cndmask_b32_e64 v9, 0x7c00, v9, s1
	s_delay_alu instid0(VALU_DEP_4) | instskip(SKIP_1) | instid1(VALU_DEP_1)
	v_lshl_or_b32 v17, v17, 9, 0x7c00
	s_wait_alu 0xf1ff
	v_cndmask_b32_e64 v9, v9, v17, s0
	v_lshrrev_b32_e32 v17, 16, v24
	v_add_co_u32 v28, s0, v12, s10
	s_wait_alu 0xf1ff
	v_add_co_ci_u32_e64 v29, s0, s11, v13, s0
	s_delay_alu instid0(VALU_DEP_3)
	v_and_or_b32 v5, 0x8000, v17, v9
	scratch_load_b32 v9, off, off offset:152 th:TH_LOAD_LU ; 4-byte Folded Reload
	v_lshl_or_b32 v3, v5, 16, v3
	global_store_b32 v[12:13], v3, off
	ds_load_2addr_stride64_b32 v[12:13], v58 offset0:48 offset1:50
	s_wait_dscnt 0x0
	v_lshrrev_b32_e32 v34, 16, v12
	s_wait_loadcnt 0x6
	v_mul_f16_e32 v3, v41, v12
	s_wait_loadcnt 0x3
	s_delay_alu instid0(VALU_DEP_1) | instskip(NEXT) | instid1(VALU_DEP_1)
	v_fma_f16 v3, v38, v34, -v3
	v_cvt_f32_f16_e32 v3, v3
	s_delay_alu instid0(VALU_DEP_1) | instskip(NEXT) | instid1(VALU_DEP_1)
	v_cvt_f64_f32_e32 v[19:20], v3
	v_mul_f64_e32 v[30:31], s[6:7], v[19:20]
	s_delay_alu instid0(VALU_DEP_1) | instskip(SKIP_2) | instid1(VALU_DEP_3)
	v_and_or_b32 v3, 0x1ff, v31, v30
	v_lshrrev_b32_e32 v5, 8, v31
	v_bfe_u32 v35, v31, 20, 11
	v_cmp_ne_u32_e64 s0, 0, v3
	s_wait_alu 0xf1ff
	s_delay_alu instid0(VALU_DEP_1) | instskip(NEXT) | instid1(VALU_DEP_1)
	v_cndmask_b32_e64 v3, 0, 1, s0
	v_and_or_b32 v30, 0xffe, v5, v3
	v_sub_nc_u32_e32 v3, 0x3f1, v35
	s_delay_alu instid0(VALU_DEP_2) | instskip(NEXT) | instid1(VALU_DEP_2)
	v_or_b32_e32 v5, 0x1000, v30
	v_med3_i32 v3, v3, 0, 13
	s_delay_alu instid0(VALU_DEP_1) | instskip(NEXT) | instid1(VALU_DEP_1)
	v_lshrrev_b32_e32 v36, v3, v5
	v_lshlrev_b32_e32 v3, v3, v36
	s_delay_alu instid0(VALU_DEP_1) | instskip(SKIP_3) | instid1(VALU_DEP_1)
	v_cmp_ne_u32_e64 s3, v3, v5
	scratch_load_b32 v5, off, off offset:156 th:TH_LOAD_LU ; 4-byte Folded Reload
	v_lshrrev_b32_e32 v3, 16, v2
	s_wait_loadcnt 0x0
	v_mul_f16_e32 v17, v5, v3
	v_mul_f16_e32 v5, v5, v2
	s_delay_alu instid0(VALU_DEP_2) | instskip(NEXT) | instid1(VALU_DEP_2)
	v_fmac_f16_e32 v17, v9, v2
	v_fma_f16 v24, v9, v3, -v5
	ds_load_2addr_stride64_b32 v[2:3], v58 offset0:52 offset1:54
	v_cvt_f32_f16_e32 v17, v17
	s_wait_dscnt 0x0
	v_lshrrev_b32_e32 v27, 16, v3
	v_mul_f16_e32 v5, v39, v3
	s_delay_alu instid0(VALU_DEP_1)
	v_fma_f16 v5, v40, v27, -v5
	v_mul_f16_e32 v27, v39, v27
	scratch_load_b32 v39, off, off offset:120 th:TH_LOAD_LU ; 4-byte Folded Reload
	v_cvt_f32_f16_e32 v5, v5
	v_fmac_f16_e32 v27, v40, v3
	scratch_load_b32 v40, off, off offset:124 th:TH_LOAD_LU ; 4-byte Folded Reload
	v_cvt_f64_f32_e32 v[19:20], v5
	v_cvt_f32_f16_e32 v3, v27
	s_delay_alu instid0(VALU_DEP_2) | instskip(NEXT) | instid1(VALU_DEP_1)
	v_mul_f64_e32 v[19:20], s[6:7], v[19:20]
	v_and_or_b32 v5, 0x1ff, v20, v19
	v_lshrrev_b32_e32 v9, 8, v20
	s_delay_alu instid0(VALU_DEP_2) | instskip(SKIP_1) | instid1(VALU_DEP_1)
	v_cmp_ne_u32_e64 s0, 0, v5
	s_wait_alu 0xf1ff
	v_cndmask_b32_e64 v5, 0, 1, s0
	s_delay_alu instid0(VALU_DEP_1) | instskip(SKIP_1) | instid1(VALU_DEP_2)
	v_and_or_b32 v5, 0xffe, v9, v5
	v_bfe_u32 v9, v20, 20, 11
	v_or_b32_e32 v22, 0x1000, v5
	s_delay_alu instid0(VALU_DEP_2) | instskip(SKIP_1) | instid1(VALU_DEP_2)
	v_sub_nc_u32_e32 v19, 0x3f1, v9
	v_add_nc_u32_e32 v9, 0xfffffc10, v9
	v_med3_i32 v21, v19, 0, 13
	s_delay_alu instid0(VALU_DEP_1) | instskip(NEXT) | instid1(VALU_DEP_1)
	v_lshrrev_b32_e32 v19, v21, v22
	v_lshlrev_b32_e32 v21, v21, v19
	s_delay_alu instid0(VALU_DEP_1) | instskip(SKIP_1) | instid1(VALU_DEP_1)
	v_cmp_ne_u32_e64 s0, v21, v22
	v_cvt_f64_f32_e32 v[21:22], v17
	v_mul_f64_e32 v[21:22], s[6:7], v[21:22]
	s_delay_alu instid0(VALU_DEP_1) | instskip(SKIP_2) | instid1(VALU_DEP_3)
	v_and_or_b32 v17, 0x1ff, v22, v21
	v_lshrrev_b32_e32 v21, 8, v22
	v_bfe_u32 v25, v22, 20, 11
	v_cmp_ne_u32_e64 s1, 0, v17
	s_wait_alu 0xf1ff
	s_delay_alu instid0(VALU_DEP_1) | instskip(NEXT) | instid1(VALU_DEP_1)
	v_cndmask_b32_e64 v17, 0, 1, s1
	v_and_or_b32 v21, 0xffe, v21, v17
	v_sub_nc_u32_e32 v17, 0x3f1, v25
	s_delay_alu instid0(VALU_DEP_2) | instskip(NEXT) | instid1(VALU_DEP_2)
	v_or_b32_e32 v32, 0x1000, v21
	v_med3_i32 v17, v17, 0, 13
	s_delay_alu instid0(VALU_DEP_1) | instskip(NEXT) | instid1(VALU_DEP_1)
	v_lshrrev_b32_e32 v26, v17, v32
	v_lshlrev_b32_e32 v17, v17, v26
	s_delay_alu instid0(VALU_DEP_1) | instskip(SKIP_1) | instid1(VALU_DEP_1)
	v_cmp_ne_u32_e64 s1, v17, v32
	v_cvt_f64_f32_e32 v[32:33], v1
	v_mul_f64_e32 v[32:33], s[6:7], v[32:33]
	s_delay_alu instid0(VALU_DEP_1) | instskip(SKIP_1) | instid1(VALU_DEP_2)
	v_and_or_b32 v1, 0x1ff, v33, v32
	v_lshrrev_b32_e32 v7, 8, v33
	v_cmp_ne_u32_e64 s2, 0, v1
	s_wait_alu 0xf1ff
	s_delay_alu instid0(VALU_DEP_1) | instskip(NEXT) | instid1(VALU_DEP_1)
	v_cndmask_b32_e64 v1, 0, 1, s2
	v_and_or_b32 v1, 0xffe, v7, v1
	v_bfe_u32 v7, v33, 20, 11
	s_delay_alu instid0(VALU_DEP_2) | instskip(NEXT) | instid1(VALU_DEP_2)
	v_or_b32_e32 v32, 0x1000, v1
	v_sub_nc_u32_e32 v17, 0x3f1, v7
	v_add_nc_u32_e32 v7, 0xfffffc10, v7
	v_cmp_ne_u32_e64 s5, 0, v1
	s_delay_alu instid0(VALU_DEP_3) | instskip(NEXT) | instid1(VALU_DEP_1)
	v_med3_i32 v17, v17, 0, 13
	v_lshrrev_b32_e32 v37, v17, v32
	s_delay_alu instid0(VALU_DEP_1) | instskip(NEXT) | instid1(VALU_DEP_1)
	v_lshlrev_b32_e32 v17, v17, v37
	v_cmp_ne_u32_e64 s2, v17, v32
	v_lshl_or_b32 v32, v7, 12, v1
	s_wait_alu 0xfffd
	v_cndmask_b32_e64 v1, 0, 1, vcc_lo
	v_cmp_gt_i32_e32 vcc_lo, 1, v15
	s_wait_alu 0xf1ff
	v_cndmask_b32_e64 v17, 0, 1, s2
	v_cmp_gt_i32_e64 s2, 1, v7
	v_or_b32_e32 v1, v23, v1
	v_lshl_or_b32 v23, v15, 12, v11
	s_delay_alu instid0(VALU_DEP_4) | instskip(SKIP_1) | instid1(VALU_DEP_2)
	v_or_b32_e32 v17, v37, v17
	s_wait_alu 0xfffd
	v_cndmask_b32_e32 v1, v23, v1, vcc_lo
	v_cndmask_b32_e64 v23, 0, 1, s5
	s_wait_alu 0xf1ff
	v_cndmask_b32_e64 v17, v32, v17, s2
	s_delay_alu instid0(VALU_DEP_2) | instskip(NEXT) | instid1(VALU_DEP_2)
	v_lshl_or_b32 v23, v23, 9, 0x7c00
	v_and_b32_e32 v32, 7, v17
	v_lshrrev_b32_e32 v17, 2, v17
	s_delay_alu instid0(VALU_DEP_2) | instskip(SKIP_1) | instid1(VALU_DEP_1)
	v_cmp_lt_i32_e64 s2, 5, v32
	v_cmp_eq_u32_e64 s4, 3, v32
	s_or_b32 vcc_lo, s4, s2
	v_cmp_ne_u32_e64 s4, 0, v11
	s_wait_alu 0xfffe
	v_add_co_ci_u32_e32 v17, vcc_lo, 0, v17, vcc_lo
	v_cmp_gt_i32_e32 vcc_lo, 31, v7
	s_wait_alu 0xf1ff
	v_cndmask_b32_e64 v11, 0, 1, s4
	s_wait_alu 0xfffd
	v_cndmask_b32_e32 v17, 0x7c00, v17, vcc_lo
	v_cmp_eq_u32_e32 vcc_lo, 0x40f, v7
	s_delay_alu instid0(VALU_DEP_3) | instskip(SKIP_1) | instid1(VALU_DEP_3)
	v_lshl_or_b32 v11, v11, 9, 0x7c00
	s_wait_alu 0xfffd
	v_cndmask_b32_e32 v7, v17, v23, vcc_lo
	v_and_b32_e32 v23, 7, v1
	v_lshrrev_b32_e32 v1, 2, v1
	v_lshrrev_b32_e32 v17, 16, v33
	s_delay_alu instid0(VALU_DEP_3) | instskip(SKIP_1) | instid1(VALU_DEP_3)
	v_cmp_lt_i32_e32 vcc_lo, 5, v23
	v_cmp_eq_u32_e64 s2, 3, v23
	v_and_or_b32 v7, 0x8000, v17, v7
	s_delay_alu instid0(VALU_DEP_2) | instskip(NEXT) | instid1(VALU_DEP_1)
	s_or_b32 vcc_lo, s2, vcc_lo
	v_and_b32_e32 v7, 0xffff, v7
	s_wait_alu 0xfffe
	v_add_co_ci_u32_e32 v1, vcc_lo, 0, v1, vcc_lo
	v_cmp_gt_i32_e32 vcc_lo, 31, v15
	s_wait_alu 0xfffd
	s_delay_alu instid0(VALU_DEP_2) | instskip(SKIP_2) | instid1(VALU_DEP_2)
	v_cndmask_b32_e32 v1, 0x7c00, v1, vcc_lo
	v_cmp_eq_u32_e32 vcc_lo, 0x40f, v15
	s_wait_alu 0xfffd
	v_cndmask_b32_e32 v1, v1, v11, vcc_lo
	v_lshrrev_b32_e32 v11, 16, v16
	v_add_co_u32 v16, vcc_lo, v28, s10
	s_wait_alu 0xfffd
	v_add_co_ci_u32_e32 v17, vcc_lo, s11, v29, vcc_lo
	s_delay_alu instid0(VALU_DEP_3) | instskip(NEXT) | instid1(VALU_DEP_1)
	v_and_or_b32 v1, 0x8000, v11, v1
	v_lshl_or_b32 v1, v1, 16, v7
	global_store_b32 v[28:29], v1, off
	v_cvt_f32_f16_e32 v1, v24
	s_delay_alu instid0(VALU_DEP_1) | instskip(NEXT) | instid1(VALU_DEP_1)
	v_cvt_f64_f32_e32 v[23:24], v1
	v_mul_f64_e32 v[23:24], s[6:7], v[23:24]
	s_delay_alu instid0(VALU_DEP_1) | instskip(SKIP_2) | instid1(VALU_DEP_3)
	v_and_or_b32 v1, 0x1ff, v24, v23
	v_lshrrev_b32_e32 v7, 8, v24
	v_bfe_u32 v33, v24, 20, 11
	v_cmp_ne_u32_e32 vcc_lo, 0, v1
	s_wait_alu 0xfffd
	v_cndmask_b32_e64 v1, 0, 1, vcc_lo
	s_delay_alu instid0(VALU_DEP_1) | instskip(SKIP_1) | instid1(VALU_DEP_2)
	v_and_or_b32 v32, 0xffe, v7, v1
	v_sub_nc_u32_e32 v1, 0x3f1, v33
	v_or_b32_e32 v7, 0x1000, v32
	s_delay_alu instid0(VALU_DEP_2) | instskip(NEXT) | instid1(VALU_DEP_1)
	v_med3_i32 v1, v1, 0, 13
	v_lshrrev_b32_e32 v37, v1, v7
	s_delay_alu instid0(VALU_DEP_1) | instskip(NEXT) | instid1(VALU_DEP_1)
	v_lshlrev_b32_e32 v1, v1, v37
	v_cmp_ne_u32_e64 s2, v1, v7
	v_mul_f16_e32 v1, v41, v34
	s_delay_alu instid0(VALU_DEP_1) | instskip(SKIP_2) | instid1(VALU_DEP_1)
	v_fmac_f16_e32 v1, v38, v12
	scratch_load_b32 v38, off, off offset:144 th:TH_LOAD_LU ; 4-byte Folded Reload
	v_cvt_f32_f16_e32 v1, v1
	v_cvt_f64_f32_e32 v[11:12], v1
	s_delay_alu instid0(VALU_DEP_1) | instskip(NEXT) | instid1(VALU_DEP_1)
	v_mul_f64_e32 v[11:12], s[6:7], v[11:12]
	v_and_or_b32 v1, 0x1ff, v12, v11
	v_lshrrev_b32_e32 v7, 8, v12
	s_delay_alu instid0(VALU_DEP_2) | instskip(SKIP_2) | instid1(VALU_DEP_1)
	v_cmp_ne_u32_e32 vcc_lo, 0, v1
	s_wait_alu 0xfffd
	v_cndmask_b32_e64 v1, 0, 1, vcc_lo
	v_and_or_b32 v1, 0xffe, v7, v1
	v_bfe_u32 v7, v12, 20, 11
	s_delay_alu instid0(VALU_DEP_2) | instskip(NEXT) | instid1(VALU_DEP_2)
	v_or_b32_e32 v15, 0x1000, v1
	v_sub_nc_u32_e32 v11, 0x3f1, v7
	v_add_nc_u32_e32 v7, 0xfffffc10, v7
	v_cmp_ne_u32_e64 s5, 0, v1
	s_delay_alu instid0(VALU_DEP_3) | instskip(NEXT) | instid1(VALU_DEP_1)
	v_med3_i32 v11, v11, 0, 13
	v_lshrrev_b32_e32 v23, v11, v15
	s_delay_alu instid0(VALU_DEP_1) | instskip(NEXT) | instid1(VALU_DEP_1)
	v_lshlrev_b32_e32 v11, v11, v23
	v_cmp_ne_u32_e32 vcc_lo, v11, v15
	v_lshl_or_b32 v15, v7, 12, v1
	v_cndmask_b32_e64 v1, 0, 1, s3
	s_wait_alu 0xfffd
	v_cndmask_b32_e64 v11, 0, 1, vcc_lo
	v_cmp_gt_i32_e32 vcc_lo, 1, v7
	s_delay_alu instid0(VALU_DEP_3) | instskip(SKIP_3) | instid1(VALU_DEP_1)
	v_or_b32_e32 v1, v36, v1
	scratch_load_b32 v36, off, off offset:140 th:TH_LOAD_LU ; 4-byte Folded Reload
	v_or_b32_e32 v11, v23, v11
	s_wait_alu 0xfffd
	v_cndmask_b32_e32 v11, v15, v11, vcc_lo
	s_delay_alu instid0(VALU_DEP_1) | instskip(SKIP_1) | instid1(VALU_DEP_2)
	v_and_b32_e32 v15, 7, v11
	v_lshrrev_b32_e32 v11, 2, v11
	v_cmp_lt_i32_e32 vcc_lo, 5, v15
	v_cmp_eq_u32_e64 s4, 3, v15
	v_add_nc_u32_e32 v15, 0xfffffc10, v35
	s_delay_alu instid0(VALU_DEP_2) | instskip(NEXT) | instid1(VALU_DEP_1)
	s_or_b32 vcc_lo, s4, vcc_lo
	v_lshl_or_b32 v23, v15, 12, v30
	v_cmp_gt_i32_e64 s3, 1, v15
	s_wait_alu 0xfffe
	v_add_co_ci_u32_e32 v11, vcc_lo, 0, v11, vcc_lo
	v_cmp_gt_i32_e32 vcc_lo, 31, v7
	v_cmp_ne_u32_e64 s4, 0, v30
	s_wait_alu 0xf1ff
	v_cndmask_b32_e64 v1, v23, v1, s3
	v_cndmask_b32_e64 v23, 0, 1, s5
	s_wait_alu 0xfffd
	v_cndmask_b32_e32 v11, 0x7c00, v11, vcc_lo
	v_cmp_eq_u32_e32 vcc_lo, 0x40f, v7
	s_delay_alu instid0(VALU_DEP_3) | instskip(SKIP_1) | instid1(VALU_DEP_1)
	v_lshl_or_b32 v23, v23, 9, 0x7c00
	s_wait_alu 0xfffd
	v_cndmask_b32_e32 v7, v11, v23, vcc_lo
	v_lshrrev_b32_e32 v11, 16, v12
	v_and_b32_e32 v12, 7, v1
	v_lshrrev_b32_e32 v1, 2, v1
	s_delay_alu instid0(VALU_DEP_3) | instskip(NEXT) | instid1(VALU_DEP_3)
	v_and_or_b32 v7, 0x8000, v11, v7
	v_cmp_lt_i32_e32 vcc_lo, 5, v12
	v_cmp_eq_u32_e64 s3, 3, v12
	v_cndmask_b32_e64 v12, 0, 1, s4
	scratch_load_b32 v11, off, off offset:148 th:TH_LOAD_LU ; 4-byte Folded Reload
	v_and_b32_e32 v7, 0xffff, v7
	s_or_b32 vcc_lo, s3, vcc_lo
	v_lshl_or_b32 v12, v12, 9, 0x7c00
	s_wait_alu 0xfffe
	v_add_co_ci_u32_e32 v1, vcc_lo, 0, v1, vcc_lo
	v_cmp_gt_i32_e32 vcc_lo, 31, v15
	s_wait_alu 0xfffd
	s_delay_alu instid0(VALU_DEP_2) | instskip(SKIP_2) | instid1(VALU_DEP_2)
	v_cndmask_b32_e32 v1, 0x7c00, v1, vcc_lo
	v_cmp_eq_u32_e32 vcc_lo, 0x40f, v15
	s_wait_alu 0xfffd
	v_cndmask_b32_e32 v1, v1, v12, vcc_lo
	v_lshrrev_b32_e32 v12, 16, v31
	s_delay_alu instid0(VALU_DEP_1)
	v_and_or_b32 v1, 0x8000, v12, v1
	scratch_load_b32 v12, off, off offset:136 th:TH_LOAD_LU ; 4-byte Folded Reload
	v_lshl_or_b32 v1, v1, 16, v7
	v_lshrrev_b32_e32 v7, 16, v14
	global_store_b32 v[16:17], v1, off
	v_add_co_u32 v16, vcc_lo, v16, s10
	s_wait_alu 0xfffd
	v_add_co_ci_u32_e32 v17, vcc_lo, s11, v17, vcc_lo
	s_wait_loadcnt 0x1
	v_mul_f16_e32 v1, v11, v7
	v_mul_f16_e32 v11, v11, v14
	s_wait_loadcnt 0x0
	s_delay_alu instid0(VALU_DEP_2)
	v_fmac_f16_e32 v1, v12, v14
	ds_load_2addr_stride64_b32 v[14:15], v58 offset0:8 offset1:10
	v_fma_f16 v28, v12, v7, -v11
	v_cvt_f32_f16_e32 v1, v1
	s_wait_dscnt 0x0
	v_lshrrev_b32_e32 v23, 16, v14
	v_mul_f16_e32 v7, v38, v14
	s_delay_alu instid0(VALU_DEP_1) | instskip(NEXT) | instid1(VALU_DEP_1)
	v_fma_f16 v7, v36, v23, -v7
	v_cvt_f32_f16_e32 v7, v7
	s_delay_alu instid0(VALU_DEP_1) | instskip(NEXT) | instid1(VALU_DEP_1)
	v_cvt_f64_f32_e32 v[11:12], v7
	v_mul_f64_e32 v[11:12], s[6:7], v[11:12]
	s_delay_alu instid0(VALU_DEP_1) | instskip(SKIP_1) | instid1(VALU_DEP_2)
	v_and_or_b32 v7, 0x1ff, v12, v11
	v_lshrrev_b32_e32 v11, 8, v12
	v_cmp_ne_u32_e32 vcc_lo, 0, v7
	s_wait_alu 0xfffd
	v_cndmask_b32_e64 v7, 0, 1, vcc_lo
	s_delay_alu instid0(VALU_DEP_1) | instskip(SKIP_1) | instid1(VALU_DEP_2)
	v_and_or_b32 v7, 0xffe, v11, v7
	v_bfe_u32 v11, v12, 20, 11
	v_or_b32_e32 v31, 0x1000, v7
	s_delay_alu instid0(VALU_DEP_2) | instskip(NEXT) | instid1(VALU_DEP_1)
	v_sub_nc_u32_e32 v29, 0x3f1, v11
	v_med3_i32 v30, v29, 0, 13
	s_delay_alu instid0(VALU_DEP_1) | instskip(NEXT) | instid1(VALU_DEP_1)
	v_lshrrev_b32_e32 v29, v30, v31
	v_lshlrev_b32_e32 v30, v30, v29
	s_delay_alu instid0(VALU_DEP_1) | instskip(SKIP_1) | instid1(VALU_DEP_1)
	v_cmp_ne_u32_e32 vcc_lo, v30, v31
	v_cvt_f64_f32_e32 v[30:31], v3
	v_mul_f64_e32 v[30:31], s[6:7], v[30:31]
	s_delay_alu instid0(VALU_DEP_1) | instskip(SKIP_1) | instid1(VALU_DEP_2)
	v_and_or_b32 v3, 0x1ff, v31, v30
	v_lshrrev_b32_e32 v27, 8, v31
	v_cmp_ne_u32_e64 s3, 0, v3
	s_wait_alu 0xf1ff
	s_delay_alu instid0(VALU_DEP_1) | instskip(NEXT) | instid1(VALU_DEP_1)
	v_cndmask_b32_e64 v3, 0, 1, s3
	v_and_or_b32 v3, 0xffe, v27, v3
	v_bfe_u32 v27, v31, 20, 11
	s_delay_alu instid0(VALU_DEP_2) | instskip(NEXT) | instid1(VALU_DEP_2)
	v_or_b32_e32 v34, 0x1000, v3
	v_sub_nc_u32_e32 v30, 0x3f1, v27
	v_add_nc_u32_e32 v27, 0xfffffc10, v27
	v_cmp_ne_u32_e64 s5, 0, v3
	s_delay_alu instid0(VALU_DEP_3) | instskip(NEXT) | instid1(VALU_DEP_1)
	v_med3_i32 v30, v30, 0, 13
	v_lshrrev_b32_e32 v35, v30, v34
	s_delay_alu instid0(VALU_DEP_1) | instskip(NEXT) | instid1(VALU_DEP_1)
	v_lshlrev_b32_e32 v30, v30, v35
	v_cmp_ne_u32_e64 s3, v30, v34
	v_lshl_or_b32 v34, v27, 12, v3
	v_cndmask_b32_e64 v3, 0, 1, s0
	v_cmp_gt_i32_e64 s0, 1, v9
	s_wait_alu 0xf1ff
	v_cndmask_b32_e64 v30, 0, 1, s3
	v_cmp_gt_i32_e64 s3, 1, v27
	v_or_b32_e32 v3, v19, v3
	v_lshl_or_b32 v19, v9, 12, v5
	s_delay_alu instid0(VALU_DEP_4) | instskip(NEXT) | instid1(VALU_DEP_2)
	v_or_b32_e32 v30, v35, v30
	v_cndmask_b32_e64 v3, v19, v3, s0
	s_wait_alu 0xf1ff
	s_delay_alu instid0(VALU_DEP_2) | instskip(NEXT) | instid1(VALU_DEP_1)
	v_cndmask_b32_e64 v30, v34, v30, s3
	v_and_b32_e32 v34, 7, v30
	v_lshrrev_b32_e32 v19, 2, v30
	v_cndmask_b32_e64 v30, 0, 1, s5
	s_delay_alu instid0(VALU_DEP_3) | instskip(SKIP_1) | instid1(VALU_DEP_3)
	v_cmp_lt_i32_e64 s3, 5, v34
	v_cmp_eq_u32_e64 s4, 3, v34
	v_lshl_or_b32 v30, v30, 9, 0x7c00
	s_delay_alu instid0(VALU_DEP_2)
	s_or_b32 s0, s4, s3
	v_cmp_ne_u32_e64 s4, 0, v5
	s_wait_alu 0xfffe
	v_add_co_ci_u32_e64 v19, s0, 0, v19, s0
	v_cmp_gt_i32_e64 s0, 31, v27
	v_cndmask_b32_e64 v5, 0, 1, s1
	s_wait_alu 0xf1ff
	s_delay_alu instid0(VALU_DEP_2)
	v_cndmask_b32_e64 v19, 0x7c00, v19, s0
	v_cmp_eq_u32_e64 s0, 0x40f, v27
	v_and_b32_e32 v27, 7, v3
	v_lshrrev_b32_e32 v3, 2, v3
	v_or_b32_e32 v5, v26, v5
	v_cndmask_b32_e64 v26, 0, 1, s4
	s_wait_alu 0xf1ff
	v_cndmask_b32_e64 v19, v19, v30, s0
	v_cmp_lt_i32_e64 s0, 5, v27
	v_cmp_eq_u32_e64 s3, 3, v27
	v_lshrrev_b32_e32 v27, 16, v31
	v_lshl_or_b32 v26, v26, 9, 0x7c00
	s_delay_alu instid0(VALU_DEP_3) | instskip(NEXT) | instid1(VALU_DEP_2)
	s_or_b32 s0, s3, s0
	v_and_or_b32 v19, 0x8000, v27, v19
	s_wait_alu 0xfffe
	v_add_co_ci_u32_e64 v3, s0, 0, v3, s0
	v_cmp_gt_i32_e64 s0, 31, v9
	v_cmp_ne_u32_e64 s3, 0, v21
	s_wait_alu 0xf1ff
	s_delay_alu instid0(VALU_DEP_2) | instskip(SKIP_4) | instid1(VALU_DEP_3)
	v_cndmask_b32_e64 v3, 0x7c00, v3, s0
	v_cmp_eq_u32_e64 s0, 0x40f, v9
	v_lshrrev_b32_e32 v9, 16, v20
	v_add_nc_u32_e32 v20, 0xfffffc10, v25
	s_wait_alu 0xf1ff
	v_cndmask_b32_e64 v3, v3, v26, s0
	v_lshrrev_b32_e32 v26, 16, v18
	s_delay_alu instid0(VALU_DEP_3) | instskip(SKIP_1) | instid1(VALU_DEP_4)
	v_lshl_or_b32 v25, v20, 12, v21
	v_cmp_gt_i32_e64 s0, 1, v20
	v_and_or_b32 v3, 0x8000, v9, v3
	s_wait_alu 0xf1ff
	s_delay_alu instid0(VALU_DEP_2) | instskip(NEXT) | instid1(VALU_DEP_1)
	v_cndmask_b32_e64 v5, v25, v5, s0
	v_and_b32_e32 v9, 7, v5
	v_lshrrev_b32_e32 v5, 2, v5
	s_delay_alu instid0(VALU_DEP_2) | instskip(SKIP_3) | instid1(VALU_DEP_3)
	v_cmp_lt_i32_e64 s0, 5, v9
	v_cmp_eq_u32_e64 s1, 3, v9
	v_and_b32_e32 v9, 0xffff, v19
	v_add_nc_u32_e32 v19, 0xfffffc10, v33
	s_or_b32 s0, s1, s0
	s_delay_alu instid0(VALU_DEP_2) | instskip(SKIP_1) | instid1(VALU_DEP_3)
	v_lshl_or_b32 v3, v3, 16, v9
	v_cndmask_b32_e64 v9, 0, 1, s2
	v_lshl_or_b32 v21, v19, 12, v32
	v_cmp_gt_i32_e64 s2, 1, v19
	s_wait_alu 0xfffe
	v_add_co_ci_u32_e64 v5, s0, 0, v5, s0
	v_or_b32_e32 v9, v37, v9
	v_cmp_gt_i32_e64 s0, 31, v20
	global_store_b32 v[16:17], v3, off
	v_cvt_f32_f16_e32 v3, v28
	v_mad_co_u64_u32 v[16:17], null, 0xffffcc00, s8, v[16:17]
	s_wait_alu 0xf1ff
	v_cndmask_b32_e64 v9, v21, v9, s2
	v_cndmask_b32_e64 v21, 0, 1, s3
	;; [unrolled: 1-line block ×3, first 2 shown]
	v_cmp_eq_u32_e64 s0, 0x40f, v20
	v_cmp_ne_u32_e64 s2, 0, v32
	v_lshrrev_b32_e32 v20, 16, v22
	v_lshl_or_b32 v21, v21, 9, 0x7c00
	scratch_load_b32 v37, off, off offset:108 th:TH_LOAD_LU ; 4-byte Folded Reload
	s_wait_alu 0xf1ff
	v_cndmask_b32_e64 v5, v5, v21, s0
	v_and_b32_e32 v21, 7, v9
	v_lshrrev_b32_e32 v9, 2, v9
	s_delay_alu instid0(VALU_DEP_3) | instskip(NEXT) | instid1(VALU_DEP_3)
	v_and_or_b32 v5, 0x8000, v20, v5
	v_cmp_lt_i32_e64 s0, 5, v21
	v_cmp_eq_u32_e64 s1, 3, v21
	v_cndmask_b32_e64 v21, 0, 1, s2
	s_delay_alu instid0(VALU_DEP_2) | instskip(NEXT) | instid1(VALU_DEP_1)
	s_or_b32 s0, s1, s0
	v_lshl_or_b32 v21, v21, 9, 0x7c00
	s_wait_alu 0xfffe
	v_add_co_ci_u32_e64 v9, s0, 0, v9, s0
	v_cmp_gt_i32_e64 s0, 31, v19
	s_wait_alu 0xf1ff
	s_delay_alu instid0(VALU_DEP_1)
	v_cndmask_b32_e64 v9, 0x7c00, v9, s0
	v_cmp_eq_u32_e64 s0, 0x40f, v19
	v_lshrrev_b32_e32 v19, 16, v24
	scratch_load_b32 v24, off, off offset:128 th:TH_LOAD_LU ; 4-byte Folded Reload
	s_wait_alu 0xf1ff
	v_cndmask_b32_e64 v9, v9, v21, s0
	s_mul_i32 s0, s9, 0xffffcc00
	s_wait_alu 0xfffe
	s_sub_co_i32 s9, s0, s8
	s_delay_alu instid0(VALU_DEP_1) | instskip(SKIP_4) | instid1(VALU_DEP_2)
	v_and_or_b32 v9, 0x8000, v19, v9
	v_cvt_f64_f32_e32 v[19:20], v3
	v_and_b32_e32 v3, 0xffff, v5
	s_wait_alu 0xfffe
	v_add_nc_u32_e32 v17, s9, v17
	v_lshl_or_b32 v3, v9, 16, v3
	scratch_load_b32 v9, off, off offset:132 th:TH_LOAD_LU ; 4-byte Folded Reload
	global_store_b32 v[16:17], v3, off
	v_mul_f64_e32 v[21:22], s[6:7], v[19:20]
	v_add_co_u32 v19, s0, v16, s10
	s_wait_alu 0xf1ff
	v_add_co_ci_u32_e64 v20, s0, s11, v17, s0
	s_delay_alu instid0(VALU_DEP_3) | instskip(SKIP_3) | instid1(VALU_DEP_4)
	v_and_or_b32 v3, 0x1ff, v22, v21
	v_lshrrev_b32_e32 v5, 8, v22
	v_bfe_u32 v30, v22, 20, 11
	v_lshrrev_b32_e32 v22, 16, v22
	v_cmp_ne_u32_e64 s0, 0, v3
	s_wait_alu 0xf1ff
	s_delay_alu instid0(VALU_DEP_1) | instskip(NEXT) | instid1(VALU_DEP_1)
	v_cndmask_b32_e64 v3, 0, 1, s0
	v_and_or_b32 v28, 0xffe, v5, v3
	v_sub_nc_u32_e32 v3, 0x3f1, v30
	s_delay_alu instid0(VALU_DEP_2) | instskip(NEXT) | instid1(VALU_DEP_2)
	v_or_b32_e32 v5, 0x1000, v28
	v_med3_i32 v3, v3, 0, 13
	s_delay_alu instid0(VALU_DEP_1) | instskip(NEXT) | instid1(VALU_DEP_1)
	v_lshrrev_b32_e32 v31, v3, v5
	v_lshlrev_b32_e32 v3, v3, v31
	s_delay_alu instid0(VALU_DEP_1) | instskip(SKIP_2) | instid1(VALU_DEP_1)
	v_cmp_ne_u32_e64 s1, v3, v5
	v_lshrrev_b32_e32 v5, 16, v10
	s_wait_loadcnt 0x0
	v_mul_f16_e32 v3, v9, v5
	v_mul_f16_e32 v21, v9, v10
	;; [unrolled: 1-line block ×3, first 2 shown]
	s_delay_alu instid0(VALU_DEP_3) | instskip(NEXT) | instid1(VALU_DEP_3)
	v_fmac_f16_e32 v3, v24, v10
	v_fma_f16 v5, v24, v5, -v21
	s_delay_alu instid0(VALU_DEP_3) | instskip(NEXT) | instid1(VALU_DEP_3)
	v_fmac_f16_e32 v9, v36, v14
	v_cvt_f32_f16_e32 v3, v3
	s_delay_alu instid0(VALU_DEP_3) | instskip(NEXT) | instid1(VALU_DEP_3)
	v_cvt_f32_f16_e32 v5, v5
	v_cvt_f32_f16_e32 v9, v9
	s_delay_alu instid0(VALU_DEP_1) | instskip(NEXT) | instid1(VALU_DEP_1)
	v_cvt_f64_f32_e32 v[9:10], v9
	v_mul_f64_e32 v[9:10], s[6:7], v[9:10]
	s_delay_alu instid0(VALU_DEP_1) | instskip(SKIP_1) | instid1(VALU_DEP_2)
	v_and_or_b32 v9, 0x1ff, v10, v9
	v_lshrrev_b32_e32 v14, 8, v10
	v_cmp_ne_u32_e64 s0, 0, v9
	s_wait_alu 0xf1ff
	s_delay_alu instid0(VALU_DEP_1) | instskip(NEXT) | instid1(VALU_DEP_1)
	v_cndmask_b32_e64 v9, 0, 1, s0
	v_and_or_b32 v9, 0xffe, v14, v9
	v_bfe_u32 v14, v10, 20, 11
	v_lshrrev_b32_e32 v10, 16, v10
	s_delay_alu instid0(VALU_DEP_3) | instskip(NEXT) | instid1(VALU_DEP_3)
	v_or_b32_e32 v17, 0x1000, v9
	v_sub_nc_u32_e32 v16, 0x3f1, v14
	v_add_nc_u32_e32 v14, 0xfffffc10, v14
	s_delay_alu instid0(VALU_DEP_2) | instskip(NEXT) | instid1(VALU_DEP_1)
	v_med3_i32 v16, v16, 0, 13
	v_lshrrev_b32_e32 v23, v16, v17
	s_delay_alu instid0(VALU_DEP_1) | instskip(NEXT) | instid1(VALU_DEP_1)
	v_lshlrev_b32_e32 v16, v16, v23
	v_cmp_ne_u32_e64 s0, v16, v17
	v_lshl_or_b32 v17, v14, 12, v9
	s_wait_alu 0xf1ff
	s_delay_alu instid0(VALU_DEP_2) | instskip(SKIP_1) | instid1(VALU_DEP_2)
	v_cndmask_b32_e64 v16, 0, 1, s0
	v_cmp_gt_i32_e64 s0, 1, v14
	v_or_b32_e32 v16, v23, v16
	s_wait_alu 0xf1ff
	s_delay_alu instid0(VALU_DEP_1) | instskip(NEXT) | instid1(VALU_DEP_1)
	v_cndmask_b32_e64 v16, v17, v16, s0
	v_and_b32_e32 v17, 7, v16
	v_lshrrev_b32_e32 v16, 2, v16
	s_delay_alu instid0(VALU_DEP_2)
	v_cmp_lt_i32_e64 s0, 5, v17
	v_cmp_eq_u32_e64 s2, 3, v17
	s_wait_alu 0xfffd
	v_cndmask_b32_e64 v17, 0, 1, vcc_lo
	v_cmp_ne_u32_e32 vcc_lo, 0, v9
	v_add_nc_u32_e32 v9, 0xfffffc10, v11
	s_or_b32 s0, s2, s0
	s_delay_alu instid0(VALU_DEP_3)
	v_or_b32_e32 v17, v29, v17
	s_wait_alu 0xfffe
	v_add_co_ci_u32_e64 v16, s0, 0, v16, s0
	v_lshl_or_b32 v11, v9, 12, v7
	v_cmp_gt_i32_e64 s3, 1, v9
	v_cmp_gt_i32_e64 s0, 31, v14
	s_wait_alu 0xf1ff
	s_delay_alu instid0(VALU_DEP_2) | instskip(SKIP_4) | instid1(VALU_DEP_3)
	v_cndmask_b32_e64 v11, v11, v17, s3
	s_wait_alu 0xfffd
	v_cndmask_b32_e64 v17, 0, 1, vcc_lo
	v_cndmask_b32_e64 v16, 0x7c00, v16, s0
	v_cmp_eq_u32_e32 vcc_lo, 0x40f, v14
	v_lshl_or_b32 v17, v17, 9, 0x7c00
	s_wait_alu 0xfffd
	s_delay_alu instid0(VALU_DEP_1) | instskip(SKIP_2) | instid1(VALU_DEP_3)
	v_cndmask_b32_e32 v14, v16, v17, vcc_lo
	v_and_b32_e32 v16, 7, v11
	v_lshrrev_b32_e32 v11, 2, v11
	v_and_or_b32 v14, 0x8000, v10, v14
	s_delay_alu instid0(VALU_DEP_3)
	v_cmp_lt_i32_e32 vcc_lo, 5, v16
	v_cmp_eq_u32_e64 s0, 3, v16
	ds_load_2addr_stride64_b32 v[16:17], v58 offset0:20 offset1:22
	s_or_b32 vcc_lo, s0, vcc_lo
	s_wait_alu 0xfffe
	v_add_co_ci_u32_e32 v11, vcc_lo, 0, v11, vcc_lo
	v_cmp_ne_u32_e32 vcc_lo, 0, v7
	s_wait_alu 0xfffd
	v_cndmask_b32_e64 v7, 0, 1, vcc_lo
	v_cmp_gt_i32_e32 vcc_lo, 31, v9
	s_delay_alu instid0(VALU_DEP_2)
	v_lshl_or_b32 v7, v7, 9, 0x7c00
	s_wait_alu 0xfffd
	v_cndmask_b32_e32 v11, 0x7c00, v11, vcc_lo
	s_wait_dscnt 0x0
	v_lshrrev_b32_e32 v29, 16, v16
	v_mul_f16_e32 v10, v40, v16
	v_cmp_eq_u32_e32 vcc_lo, 0x40f, v9
	v_lshrrev_b32_e32 v9, 16, v12
	s_delay_alu instid0(VALU_DEP_3)
	v_fma_f16 v10, v39, v29, -v10
	s_wait_alu 0xfffd
	v_cndmask_b32_e32 v7, v11, v7, vcc_lo
	v_add_co_u32 v23, vcc_lo, v19, s10
	s_wait_alu 0xfffd
	v_add_co_ci_u32_e32 v24, vcc_lo, s11, v20, vcc_lo
	v_cvt_f32_f16_e32 v10, v10
	v_and_or_b32 v7, 0x8000, v9, v7
	s_delay_alu instid0(VALU_DEP_2) | instskip(NEXT) | instid1(VALU_DEP_1)
	v_cvt_f64_f32_e32 v[9:10], v10
	v_mul_f64_e32 v[11:12], s[6:7], v[9:10]
	v_and_b32_e32 v9, 0xffff, v14
	s_delay_alu instid0(VALU_DEP_1)
	v_lshl_or_b32 v7, v7, 16, v9
	global_store_b32 v[19:20], v7, off
	scratch_load_b32 v20, off, off offset:112 th:TH_LOAD_LU ; 4-byte Folded Reload
	v_and_or_b32 v7, 0x1ff, v12, v11
	v_bfe_u32 v32, v12, 20, 11
	v_lshrrev_b32_e32 v9, 8, v12
	v_lshrrev_b32_e32 v12, 16, v12
	s_delay_alu instid0(VALU_DEP_4) | instskip(NEXT) | instid1(VALU_DEP_4)
	v_cmp_ne_u32_e32 vcc_lo, 0, v7
	v_sub_nc_u32_e32 v10, 0x3f1, v32
	s_wait_alu 0xfffd
	v_cndmask_b32_e64 v7, 0, 1, vcc_lo
	s_delay_alu instid0(VALU_DEP_1) | instskip(NEXT) | instid1(VALU_DEP_3)
	v_and_or_b32 v33, 0xffe, v9, v7
	v_med3_i32 v7, v10, 0, 13
	s_delay_alu instid0(VALU_DEP_2) | instskip(NEXT) | instid1(VALU_DEP_1)
	v_or_b32_e32 v9, 0x1000, v33
	v_lshrrev_b32_e32 v34, v7, v9
	s_delay_alu instid0(VALU_DEP_1) | instskip(NEXT) | instid1(VALU_DEP_1)
	v_lshlrev_b32_e32 v7, v7, v34
	v_cmp_ne_u32_e64 s2, v7, v9
	v_cvt_f64_f32_e32 v[9:10], v5
	s_delay_alu instid0(VALU_DEP_1) | instskip(NEXT) | instid1(VALU_DEP_1)
	v_mul_f64_e32 v[10:11], s[6:7], v[9:10]
	v_and_or_b32 v5, 0x1ff, v11, v10
	v_lshrrev_b32_e32 v7, 8, v11
	v_bfe_u32 v19, v11, 20, 11
	v_lshrrev_b32_e32 v11, 16, v11
	s_delay_alu instid0(VALU_DEP_4) | instskip(SKIP_2) | instid1(VALU_DEP_1)
	v_cmp_ne_u32_e32 vcc_lo, 0, v5
	s_wait_alu 0xfffd
	v_cndmask_b32_e64 v5, 0, 1, vcc_lo
	v_and_or_b32 v7, 0xffe, v7, v5
	v_sub_nc_u32_e32 v5, 0x3f1, v19
	s_delay_alu instid0(VALU_DEP_2) | instskip(NEXT) | instid1(VALU_DEP_2)
	v_or_b32_e32 v9, 0x1000, v7
	v_med3_i32 v5, v5, 0, 13
	s_delay_alu instid0(VALU_DEP_1) | instskip(NEXT) | instid1(VALU_DEP_1)
	v_lshrrev_b32_e32 v25, v5, v9
	v_lshlrev_b32_e32 v5, v5, v25
	s_delay_alu instid0(VALU_DEP_1)
	v_cmp_ne_u32_e32 vcc_lo, v5, v9
	scratch_load_b32 v5, off, off offset:104 th:TH_LOAD_LU ; 4-byte Folded Reload
	ds_load_2addr_stride64_b32 v[9:10], v58 offset0:32 offset1:34
	s_wait_loadcnt 0x0
	v_mul_f16_e32 v35, v5, v26
	v_mul_f16_e32 v27, v5, v18
	s_wait_dscnt 0x0
	v_lshrrev_b32_e32 v5, 16, v9
	s_delay_alu instid0(VALU_DEP_3) | instskip(SKIP_4) | instid1(VALU_DEP_2)
	v_fmac_f16_e32 v35, v37, v18
	scratch_load_b32 v18, off, off offset:116 th:TH_LOAD_LU ; 4-byte Folded Reload
	s_wait_loadcnt 0x0
	v_mul_f16_e32 v14, v18, v9
	v_mul_f16_e32 v18, v18, v5
	v_fma_f16 v36, v20, v5, -v14
	s_delay_alu instid0(VALU_DEP_2) | instskip(NEXT) | instid1(VALU_DEP_1)
	v_fmac_f16_e32 v18, v20, v9
	v_cvt_f32_f16_e32 v5, v18
	s_delay_alu instid0(VALU_DEP_1) | instskip(NEXT) | instid1(VALU_DEP_1)
	v_cvt_f64_f32_e32 v[20:21], v5
	v_mul_f64_e32 v[20:21], s[6:7], v[20:21]
	s_delay_alu instid0(VALU_DEP_1) | instskip(SKIP_2) | instid1(VALU_DEP_3)
	v_and_or_b32 v5, 0x1ff, v21, v20
	v_lshrrev_b32_e32 v9, 8, v21
	v_bfe_u32 v14, v21, 20, 11
	v_cmp_ne_u32_e64 s0, 0, v5
	s_wait_alu 0xf1ff
	s_delay_alu instid0(VALU_DEP_1) | instskip(NEXT) | instid1(VALU_DEP_1)
	v_cndmask_b32_e64 v5, 0, 1, s0
	v_and_or_b32 v5, 0xffe, v9, v5
	v_sub_nc_u32_e32 v9, 0x3f1, v14
	v_add_nc_u32_e32 v14, 0xfffffc10, v14
	s_delay_alu instid0(VALU_DEP_3) | instskip(NEXT) | instid1(VALU_DEP_3)
	v_or_b32_e32 v20, 0x1000, v5
	v_med3_i32 v9, v9, 0, 13
	s_delay_alu instid0(VALU_DEP_1) | instskip(NEXT) | instid1(VALU_DEP_1)
	v_lshrrev_b32_e32 v18, v9, v20
	v_lshlrev_b32_e32 v9, v9, v18
	s_delay_alu instid0(VALU_DEP_1) | instskip(SKIP_2) | instid1(VALU_DEP_2)
	v_cmp_ne_u32_e64 s0, v9, v20
	v_fma_f16 v20, v37, v26, -v27
	v_cvt_f64_f32_e32 v[26:27], v1
	v_cvt_f32_f16_e32 v20, v20
	s_delay_alu instid0(VALU_DEP_2) | instskip(NEXT) | instid1(VALU_DEP_1)
	v_mul_f64_e32 v[26:27], s[6:7], v[26:27]
	v_and_or_b32 v1, 0x1ff, v27, v26
	v_lshrrev_b32_e32 v9, 8, v27
	s_delay_alu instid0(VALU_DEP_2) | instskip(SKIP_1) | instid1(VALU_DEP_1)
	v_cmp_ne_u32_e64 s3, 0, v1
	s_wait_alu 0xf1ff
	v_cndmask_b32_e64 v1, 0, 1, s3
	s_delay_alu instid0(VALU_DEP_1) | instskip(SKIP_1) | instid1(VALU_DEP_2)
	v_and_or_b32 v1, 0xffe, v9, v1
	v_bfe_u32 v9, v27, 20, 11
	v_or_b32_e32 v37, 0x1000, v1
	s_delay_alu instid0(VALU_DEP_2) | instskip(SKIP_1) | instid1(VALU_DEP_2)
	v_sub_nc_u32_e32 v26, 0x3f1, v9
	v_add_nc_u32_e32 v9, 0xfffffc10, v9
	v_med3_i32 v26, v26, 0, 13
	s_delay_alu instid0(VALU_DEP_1) | instskip(NEXT) | instid1(VALU_DEP_1)
	v_lshrrev_b32_e32 v38, v26, v37
	v_lshlrev_b32_e32 v26, v26, v38
	s_delay_alu instid0(VALU_DEP_1) | instskip(SKIP_2) | instid1(VALU_DEP_2)
	v_cmp_ne_u32_e64 s3, v26, v37
	v_lshl_or_b32 v37, v9, 12, v1
	s_wait_alu 0xf1ff
	v_cndmask_b32_e64 v26, 0, 1, s3
	v_cmp_gt_i32_e64 s3, 1, v9
	s_delay_alu instid0(VALU_DEP_2) | instskip(SKIP_3) | instid1(VALU_DEP_1)
	v_or_b32_e32 v26, v38, v26
	scratch_load_b32 v38, off, off offset:76 th:TH_LOAD_LU ; 4-byte Folded Reload
	s_wait_alu 0xf1ff
	v_cndmask_b32_e64 v26, v37, v26, s3
	v_and_b32_e32 v37, 7, v26
	v_lshrrev_b32_e32 v26, 2, v26
	s_delay_alu instid0(VALU_DEP_2) | instskip(SKIP_4) | instid1(VALU_DEP_4)
	v_cmp_lt_i32_e64 s3, 5, v37
	v_cmp_eq_u32_e64 s4, 3, v37
	v_cndmask_b32_e64 v37, 0, 1, s1
	v_cmp_ne_u32_e64 s1, 0, v1
	v_add_nc_u32_e32 v1, 0xfffffc10, v30
	s_or_b32 s3, s4, s3
	s_delay_alu instid0(VALU_DEP_3)
	v_or_b32_e32 v31, v31, v37
	s_wait_alu 0xfffe
	v_add_co_ci_u32_e64 v26, s3, 0, v26, s3
	v_lshl_or_b32 v30, v1, 12, v28
	v_cmp_gt_i32_e64 s5, 1, v1
	v_cmp_gt_i32_e64 s3, 31, v9
	v_cmp_ne_u32_e64 s4, 0, v28
	s_wait_alu 0xf1ff
	s_delay_alu instid0(VALU_DEP_3) | instskip(SKIP_4) | instid1(VALU_DEP_4)
	v_cndmask_b32_e64 v30, v30, v31, s5
	v_cndmask_b32_e64 v31, 0, 1, s1
	;; [unrolled: 1-line block ×3, first 2 shown]
	v_cmp_eq_u32_e64 s1, 0x40f, v9
	v_cndmask_b32_e64 v28, 0, 1, s4
	v_lshl_or_b32 v31, v31, 9, 0x7c00
	s_delay_alu instid0(VALU_DEP_2) | instskip(SKIP_1) | instid1(VALU_DEP_2)
	v_lshl_or_b32 v28, v28, 9, 0x7c00
	s_wait_alu 0xf1ff
	v_cndmask_b32_e64 v9, v26, v31, s1
	v_lshrrev_b32_e32 v26, 16, v27
	v_and_b32_e32 v27, 7, v30
	s_delay_alu instid0(VALU_DEP_2) | instskip(NEXT) | instid1(VALU_DEP_2)
	v_and_or_b32 v9, 0x8000, v26, v9
	v_cmp_lt_i32_e64 s1, 5, v27
	v_cmp_eq_u32_e64 s3, 3, v27
	v_lshrrev_b32_e32 v27, 2, v30
	s_delay_alu instid0(VALU_DEP_4) | instskip(NEXT) | instid1(VALU_DEP_3)
	v_and_b32_e32 v9, 0xffff, v9
	s_or_b32 s1, s3, s1
	s_wait_alu 0xfffe
	s_delay_alu instid0(VALU_DEP_2) | instskip(SKIP_2) | instid1(VALU_DEP_1)
	v_add_co_ci_u32_e64 v27, s1, 0, v27, s1
	v_cmp_gt_i32_e64 s1, 31, v1
	s_wait_alu 0xf1ff
	v_cndmask_b32_e64 v27, 0x7c00, v27, s1
	v_cmp_eq_u32_e64 s1, 0x40f, v1
	s_wait_alu 0xf1ff
	s_delay_alu instid0(VALU_DEP_1) | instskip(SKIP_3) | instid1(VALU_DEP_3)
	v_cndmask_b32_e64 v1, v27, v28, s1
	v_add_co_u32 v26, s1, v23, s10
	s_wait_alu 0xf1ff
	v_add_co_ci_u32_e64 v27, s1, s11, v24, s1
	v_and_or_b32 v1, 0x8000, v22, v1
	s_delay_alu instid0(VALU_DEP_1) | instskip(SKIP_2) | instid1(VALU_DEP_1)
	v_lshl_or_b32 v1, v1, 16, v9
	global_store_b32 v[23:24], v1, off
	v_cvt_f32_f16_e32 v1, v36
	v_cvt_f64_f32_e32 v[22:23], v1
	s_delay_alu instid0(VALU_DEP_1) | instskip(NEXT) | instid1(VALU_DEP_1)
	v_mul_f64_e32 v[23:24], s[6:7], v[22:23]
	v_and_or_b32 v1, 0x1ff, v24, v23
	v_lshrrev_b32_e32 v9, 8, v24
	v_bfe_u32 v30, v24, 20, 11
	s_delay_alu instid0(VALU_DEP_3) | instskip(SKIP_1) | instid1(VALU_DEP_1)
	v_cmp_ne_u32_e64 s1, 0, v1
	s_wait_alu 0xf1ff
	v_cndmask_b32_e64 v1, 0, 1, s1
	s_delay_alu instid0(VALU_DEP_1) | instskip(SKIP_2) | instid1(VALU_DEP_3)
	v_and_or_b32 v9, 0xffe, v9, v1
	v_sub_nc_u32_e32 v1, 0x3f1, v30
	v_add_nc_u32_e32 v30, 0xfffffc10, v30
	v_or_b32_e32 v22, 0x1000, v9
	s_delay_alu instid0(VALU_DEP_3) | instskip(NEXT) | instid1(VALU_DEP_1)
	v_med3_i32 v1, v1, 0, 13
	v_lshrrev_b32_e32 v36, v1, v22
	s_delay_alu instid0(VALU_DEP_1) | instskip(NEXT) | instid1(VALU_DEP_1)
	v_lshlrev_b32_e32 v1, v1, v36
	v_cmp_ne_u32_e64 s1, v1, v22
	v_mul_f16_e32 v1, v40, v29
	s_delay_alu instid0(VALU_DEP_1) | instskip(SKIP_2) | instid1(VALU_DEP_1)
	v_fmac_f16_e32 v1, v39, v16
	scratch_load_b32 v39, off, off offset:72 th:TH_LOAD_LU ; 4-byte Folded Reload
	v_cvt_f32_f16_e32 v1, v1
	v_cvt_f64_f32_e32 v[22:23], v1
	s_delay_alu instid0(VALU_DEP_1) | instskip(NEXT) | instid1(VALU_DEP_1)
	v_mul_f64_e32 v[22:23], s[6:7], v[22:23]
	v_and_or_b32 v1, 0x1ff, v23, v22
	v_lshrrev_b32_e32 v16, 8, v23
	s_delay_alu instid0(VALU_DEP_2) | instskip(SKIP_1) | instid1(VALU_DEP_1)
	v_cmp_ne_u32_e64 s3, 0, v1
	s_wait_alu 0xf1ff
	v_cndmask_b32_e64 v1, 0, 1, s3
	s_delay_alu instid0(VALU_DEP_1) | instskip(SKIP_1) | instid1(VALU_DEP_2)
	v_and_or_b32 v1, 0xffe, v16, v1
	v_bfe_u32 v16, v23, 20, 11
	v_or_b32_e32 v28, 0x1000, v1
	s_delay_alu instid0(VALU_DEP_2) | instskip(SKIP_1) | instid1(VALU_DEP_2)
	v_sub_nc_u32_e32 v22, 0x3f1, v16
	v_add_nc_u32_e32 v16, 0xfffffc10, v16
	v_med3_i32 v22, v22, 0, 13
	s_delay_alu instid0(VALU_DEP_1) | instskip(NEXT) | instid1(VALU_DEP_1)
	v_lshrrev_b32_e32 v29, v22, v28
	v_lshlrev_b32_e32 v22, v22, v29
	s_delay_alu instid0(VALU_DEP_1) | instskip(SKIP_2) | instid1(VALU_DEP_2)
	v_cmp_ne_u32_e64 s3, v22, v28
	v_lshl_or_b32 v28, v16, 12, v1
	s_wait_alu 0xf1ff
	v_cndmask_b32_e64 v22, 0, 1, s3
	v_cmp_gt_i32_e64 s3, 1, v16
	s_delay_alu instid0(VALU_DEP_2) | instskip(SKIP_1) | instid1(VALU_DEP_1)
	v_or_b32_e32 v22, v29, v22
	s_wait_alu 0xf1ff
	v_cndmask_b32_e64 v22, v28, v22, s3
	s_delay_alu instid0(VALU_DEP_1) | instskip(SKIP_1) | instid1(VALU_DEP_2)
	v_and_b32_e32 v28, 7, v22
	v_lshrrev_b32_e32 v22, 2, v22
	v_cmp_lt_i32_e64 s3, 5, v28
	v_cmp_eq_u32_e64 s4, 3, v28
	v_cndmask_b32_e64 v28, 0, 1, s2
	v_cmp_ne_u32_e64 s2, 0, v1
	v_add_nc_u32_e32 v1, 0xfffffc10, v32
	v_lshrrev_b32_e32 v32, 16, v13
	s_or_b32 s3, s4, s3
	v_or_b32_e32 v28, v34, v28
	s_wait_alu 0xfffe
	v_add_co_ci_u32_e64 v22, s3, 0, v22, s3
	v_lshl_or_b32 v29, v1, 12, v33
	v_cmp_gt_i32_e64 s5, 1, v1
	v_cmp_gt_i32_e64 s3, 31, v16
	v_cmp_ne_u32_e64 s4, 0, v33
	s_clause 0x1
	scratch_load_b32 v34, off, off offset:92 th:TH_LOAD_LU
	scratch_load_b32 v33, off, off offset:88 th:TH_LOAD_LU
	s_wait_alu 0xf1ff
	v_cndmask_b32_e64 v28, v29, v28, s5
	v_cndmask_b32_e64 v29, 0, 1, s2
	;; [unrolled: 1-line block ×3, first 2 shown]
	v_cmp_eq_u32_e64 s2, 0x40f, v16
	s_delay_alu instid0(VALU_DEP_3) | instskip(SKIP_1) | instid1(VALU_DEP_1)
	v_lshl_or_b32 v29, v29, 9, 0x7c00
	s_wait_alu 0xf1ff
	v_cndmask_b32_e64 v16, v22, v29, s2
	v_lshrrev_b32_e32 v22, 16, v23
	v_and_b32_e32 v23, 7, v28
	s_delay_alu instid0(VALU_DEP_2) | instskip(NEXT) | instid1(VALU_DEP_2)
	v_and_or_b32 v16, 0x8000, v22, v16
	v_cmp_lt_i32_e64 s2, 5, v23
	v_cmp_eq_u32_e64 s3, 3, v23
	v_lshrrev_b32_e32 v23, 2, v28
	v_cndmask_b32_e64 v28, 0, 1, s4
	s_delay_alu instid0(VALU_DEP_3) | instskip(SKIP_1) | instid1(VALU_DEP_2)
	s_or_b32 s2, s3, s2
	s_wait_alu 0xfffe
	v_add_co_ci_u32_e64 v23, s2, 0, v23, s2
	v_cmp_gt_i32_e64 s2, 31, v1
	v_lshl_or_b32 v28, v28, 9, 0x7c00
	s_wait_alu 0xf1ff
	s_delay_alu instid0(VALU_DEP_2) | instskip(SKIP_2) | instid1(VALU_DEP_1)
	v_cndmask_b32_e64 v23, 0x7c00, v23, s2
	v_cmp_eq_u32_e64 s2, 0x40f, v1
	s_wait_alu 0xf1ff
	v_cndmask_b32_e64 v1, v23, v28, s2
	v_cvt_f64_f32_e32 v[22:23], v3
	v_and_b32_e32 v3, 0xffff, v16
	s_delay_alu instid0(VALU_DEP_3) | instskip(NEXT) | instid1(VALU_DEP_1)
	v_and_or_b32 v1, 0x8000, v12, v1
	v_lshl_or_b32 v1, v1, 16, v3
	global_store_b32 v[26:27], v1, off
	v_add_co_u32 v26, s2, v26, s10
	s_wait_alu 0xf1ff
	v_add_co_ci_u32_e64 v27, s2, s11, v27, s2
	v_mul_f64_e32 v[28:29], s[6:7], v[22:23]
	s_delay_alu instid0(VALU_DEP_1) | instskip(SKIP_1) | instid1(VALU_DEP_2)
	v_and_or_b32 v1, 0x1ff, v29, v28
	v_lshrrev_b32_e32 v3, 8, v29
	v_cmp_ne_u32_e64 s2, 0, v1
	s_wait_alu 0xf1ff
	s_delay_alu instid0(VALU_DEP_1) | instskip(NEXT) | instid1(VALU_DEP_1)
	v_cndmask_b32_e64 v1, 0, 1, s2
	v_and_or_b32 v3, 0xffe, v3, v1
	v_bfe_u32 v1, v29, 20, 11
	s_delay_alu instid0(VALU_DEP_2) | instskip(NEXT) | instid1(VALU_DEP_2)
	v_or_b32_e32 v16, 0x1000, v3
	v_sub_nc_u32_e32 v12, 0x3f1, v1
	s_delay_alu instid0(VALU_DEP_1) | instskip(NEXT) | instid1(VALU_DEP_1)
	v_med3_i32 v12, v12, 0, 13
	v_lshrrev_b32_e32 v22, v12, v16
	s_delay_alu instid0(VALU_DEP_1) | instskip(NEXT) | instid1(VALU_DEP_1)
	v_lshlrev_b32_e32 v12, v12, v22
	v_cmp_ne_u32_e64 s2, v12, v16
	v_add_nc_u32_e32 v16, 0xfffffc10, v1
	s_wait_alu 0xf1ff
	s_delay_alu instid0(VALU_DEP_2) | instskip(NEXT) | instid1(VALU_DEP_2)
	v_cndmask_b32_e64 v12, 0, 1, s2
	v_lshl_or_b32 v1, v16, 12, v3
	v_cmp_gt_i32_e64 s2, 1, v16
	s_delay_alu instid0(VALU_DEP_3) | instskip(SKIP_1) | instid1(VALU_DEP_1)
	v_or_b32_e32 v12, v22, v12
	s_wait_alu 0xf1ff
	v_cndmask_b32_e64 v12, v1, v12, s2
	v_cvt_f32_f16_e32 v1, v35
	v_lshrrev_b32_e32 v35, 16, v8
	s_delay_alu instid0(VALU_DEP_2) | instskip(NEXT) | instid1(VALU_DEP_1)
	v_cvt_f64_f32_e32 v[22:23], v1
	v_mul_f64_e32 v[22:23], s[6:7], v[22:23]
	s_delay_alu instid0(VALU_DEP_1) | instskip(SKIP_1) | instid1(VALU_DEP_2)
	v_and_or_b32 v1, 0x1ff, v23, v22
	v_lshrrev_b32_e32 v22, 8, v23
	v_cmp_ne_u32_e64 s2, 0, v1
	s_wait_alu 0xf1ff
	s_delay_alu instid0(VALU_DEP_1) | instskip(NEXT) | instid1(VALU_DEP_1)
	v_cndmask_b32_e64 v1, 0, 1, s2
	v_and_or_b32 v1, 0xffe, v22, v1
	v_and_b32_e32 v22, 7, v12
	v_lshrrev_b32_e32 v12, 2, v12
	s_delay_alu instid0(VALU_DEP_2)
	v_cmp_lt_i32_e64 s2, 5, v22
	v_cmp_eq_u32_e64 s3, 3, v22
	s_wait_alu 0xfffd
	v_cndmask_b32_e64 v22, 0, 1, vcc_lo
	v_cmp_ne_u32_e32 vcc_lo, 0, v3
	v_add_nc_u32_e32 v3, 0xfffffc10, v19
	s_or_b32 s2, s3, s2
	s_delay_alu instid0(VALU_DEP_3)
	v_or_b32_e32 v22, v25, v22
	s_wait_alu 0xfffe
	v_add_co_ci_u32_e64 v12, s2, 0, v12, s2
	v_lshl_or_b32 v19, v3, 12, v7
	v_cmp_gt_i32_e64 s4, 1, v3
	v_cmp_gt_i32_e64 s2, 31, v16
	s_wait_alu 0xf1ff
	s_delay_alu instid0(VALU_DEP_2)
	v_cndmask_b32_e64 v19, v19, v22, s4
	s_wait_alu 0xfffd
	v_cndmask_b32_e64 v22, 0, 1, vcc_lo
	v_cndmask_b32_e64 v12, 0x7c00, v12, s2
	v_cmp_eq_u32_e32 vcc_lo, 0x40f, v16
	v_and_b32_e32 v16, 7, v19
	s_delay_alu instid0(VALU_DEP_4) | instskip(SKIP_1) | instid1(VALU_DEP_3)
	v_lshl_or_b32 v22, v22, 9, 0x7c00
	v_lshrrev_b32_e32 v19, 2, v19
	v_cmp_eq_u32_e64 s2, 3, v16
	s_wait_alu 0xfffd
	s_delay_alu instid0(VALU_DEP_3) | instskip(SKIP_3) | instid1(VALU_DEP_1)
	v_cndmask_b32_e32 v12, v12, v22, vcc_lo
	v_cmp_lt_i32_e32 vcc_lo, 5, v16
	v_lshrrev_b32_e32 v16, 16, v29
	s_or_b32 vcc_lo, s2, vcc_lo
	v_and_or_b32 v12, 0x8000, v16, v12
	s_wait_alu 0xfffe
	v_add_co_ci_u32_e32 v19, vcc_lo, 0, v19, vcc_lo
	v_cmp_ne_u32_e32 vcc_lo, 0, v7
	v_or_b32_e32 v16, 0x1000, v1
	v_and_b32_e32 v12, 0xffff, v12
	s_wait_alu 0xfffd
	v_cndmask_b32_e64 v7, 0, 1, vcc_lo
	v_cmp_gt_i32_e32 vcc_lo, 31, v3
	s_delay_alu instid0(VALU_DEP_2)
	v_lshl_or_b32 v7, v7, 9, 0x7c00
	s_wait_alu 0xfffd
	v_cndmask_b32_e32 v22, 0x7c00, v19, vcc_lo
	v_cmp_eq_u32_e32 vcc_lo, 0x40f, v3
	v_bfe_u32 v3, v23, 20, 11
	v_cvt_f64_f32_e32 v[19:20], v20
	s_wait_alu 0xfffd
	v_cndmask_b32_e32 v7, v22, v7, vcc_lo
	s_delay_alu instid0(VALU_DEP_3) | instskip(SKIP_1) | instid1(VALU_DEP_3)
	v_sub_nc_u32_e32 v22, 0x3f1, v3
	v_add_nc_u32_e32 v3, 0xfffffc10, v3
	v_and_or_b32 v11, 0x8000, v11, v7
	s_delay_alu instid0(VALU_DEP_3) | instskip(NEXT) | instid1(VALU_DEP_2)
	v_med3_i32 v22, v22, 0, 13
	v_lshl_or_b32 v11, v11, 16, v12
	s_delay_alu instid0(VALU_DEP_2)
	v_lshrrev_b32_e32 v7, v22, v16
	global_store_b32 v[26:27], v11, off
	v_lshlrev_b32_e32 v22, v22, v7
	v_add_co_u32 v26, s2, v26, s10
	s_wait_alu 0xf1ff
	v_add_co_ci_u32_e64 v27, s2, s11, v27, s2
	s_delay_alu instid0(VALU_DEP_3) | instskip(SKIP_3) | instid1(VALU_DEP_1)
	v_cmp_ne_u32_e32 vcc_lo, v22, v16
	scratch_load_b32 v22, off, off offset:100 th:TH_LOAD_LU ; 4-byte Folded Reload
	ds_load_2addr_stride64_b32 v[11:12], v58 offset0:44 offset1:46
	v_mul_f64_e32 v[19:20], s[6:7], v[19:20]
	v_and_or_b32 v16, 0x1ff, v20, v19
	v_lshrrev_b32_e32 v19, 8, v20
	s_delay_alu instid0(VALU_DEP_2) | instskip(SKIP_1) | instid1(VALU_DEP_1)
	v_cmp_ne_u32_e64 s2, 0, v16
	s_wait_alu 0xf1ff
	v_cndmask_b32_e64 v16, 0, 1, s2
	s_delay_alu instid0(VALU_DEP_1) | instskip(SKIP_2) | instid1(VALU_DEP_2)
	v_and_or_b32 v31, 0xffe, v19, v16
	v_cndmask_b32_e64 v16, 0, 1, s0
	v_cmp_gt_i32_e64 s0, 1, v14
	v_or_b32_e32 v16, v18, v16
	v_lshl_or_b32 v18, v14, 12, v5
	s_wait_alu 0xf1ff
	s_delay_alu instid0(VALU_DEP_1) | instskip(SKIP_4) | instid1(VALU_DEP_2)
	v_cndmask_b32_e64 v16, v18, v16, s0
	s_wait_dscnt 0x0
	v_lshrrev_b32_e32 v18, 16, v11
	s_wait_loadcnt 0x0
	v_mul_f16_e32 v19, v22, v11
	v_mul_f16_e32 v25, v22, v18
	scratch_load_b32 v22, off, off offset:96 th:TH_LOAD_LU ; 4-byte Folded Reload
	s_wait_loadcnt 0x0
	v_fmac_f16_e32 v25, v22, v11
	v_and_b32_e32 v11, 7, v16
	v_lshrrev_b32_e32 v16, 2, v16
	v_fma_f16 v18, v22, v18, -v19
	v_lshl_or_b32 v19, v30, 12, v9
	v_cvt_f32_f16_e32 v25, v25
	v_cmp_lt_i32_e64 s0, 5, v11
	v_cmp_eq_u32_e64 s2, 3, v11
	v_cndmask_b32_e64 v11, 0, 1, s1
	v_cvt_f32_f16_e32 v18, v18
	s_delay_alu instid0(VALU_DEP_3) | instskip(NEXT) | instid1(VALU_DEP_2)
	s_or_b32 s0, s2, s0
	v_or_b32_e32 v11, v36, v11
	s_wait_alu 0xfffe
	v_add_co_ci_u32_e64 v16, s0, 0, v16, s0
	v_cmp_ne_u32_e64 s0, 0, v5
	s_wait_alu 0xf1ff
	s_delay_alu instid0(VALU_DEP_1) | instskip(SKIP_1) | instid1(VALU_DEP_2)
	v_cndmask_b32_e64 v5, 0, 1, s0
	v_cmp_gt_i32_e64 s0, 1, v30
	v_lshl_or_b32 v5, v5, 9, 0x7c00
	s_wait_alu 0xf1ff
	s_delay_alu instid0(VALU_DEP_2) | instskip(SKIP_3) | instid1(VALU_DEP_2)
	v_cndmask_b32_e64 v11, v19, v11, s0
	v_cmp_gt_i32_e64 s0, 31, v14
	v_cvt_f64_f32_e32 v[18:19], v18
	s_wait_alu 0xf1ff
	v_cndmask_b32_e64 v16, 0x7c00, v16, s0
	v_cmp_eq_u32_e64 s0, 0x40f, v14
	v_and_b32_e32 v14, 7, v11
	v_lshrrev_b32_e32 v11, 2, v11
	s_wait_alu 0xf1ff
	s_delay_alu instid0(VALU_DEP_3) | instskip(NEXT) | instid1(VALU_DEP_3)
	v_cndmask_b32_e64 v5, v16, v5, s0
	v_cmp_lt_i32_e64 s0, 5, v14
	v_cmp_eq_u32_e64 s1, 3, v14
	v_mul_f16_e32 v14, v34, v32
	v_lshrrev_b32_e32 v16, 16, v21
	s_delay_alu instid0(VALU_DEP_3) | instskip(NEXT) | instid1(VALU_DEP_2)
	s_or_b32 s0, s1, s0
	v_fmac_f16_e32 v14, v33, v13
	s_wait_alu 0xfffe
	v_add_co_ci_u32_e64 v11, s0, 0, v11, s0
	v_cmp_ne_u32_e64 s0, 0, v9
	v_and_or_b32 v5, 0x8000, v16, v5
	v_cvt_f32_f16_e32 v14, v14
	v_mul_f16_e32 v13, v34, v13
	scratch_load_b32 v34, off, off offset:84 th:TH_LOAD_LU ; 4-byte Folded Reload
	s_wait_alu 0xf1ff
	v_cndmask_b32_e64 v9, 0, 1, s0
	v_cmp_gt_i32_e64 s0, 31, v30
	v_cvt_f64_f32_e32 v[28:29], v14
	v_bfe_u32 v14, v20, 20, 11
	v_and_b32_e32 v5, 0xffff, v5
	v_lshl_or_b32 v9, v9, 9, 0x7c00
	s_wait_alu 0xf1ff
	v_cndmask_b32_e64 v11, 0x7c00, v11, s0
	v_cmp_eq_u32_e64 s0, 0x40f, v30
	v_or_b32_e32 v30, 0x1000, v31
	v_mul_f64_e32 v[21:22], s[6:7], v[18:19]
	s_wait_alu 0xf1ff
	s_delay_alu instid0(VALU_DEP_3) | instskip(SKIP_1) | instid1(VALU_DEP_1)
	v_cndmask_b32_e64 v9, v11, v9, s0
	v_sub_nc_u32_e32 v11, 0x3f1, v14
	v_med3_i32 v11, v11, 0, 13
	v_mul_f64_e32 v[18:19], s[6:7], v[28:29]
	v_lshrrev_b32_e32 v28, 16, v24
	v_cvt_f64_f32_e32 v[24:25], v25
	s_delay_alu instid0(VALU_DEP_2) | instskip(SKIP_2) | instid1(VALU_DEP_3)
	v_and_or_b32 v9, 0x8000, v28, v9
	v_and_or_b32 v16, 0x1ff, v22, v21
	v_lshrrev_b32_e32 v21, v11, v30
	v_lshl_or_b32 v5, v9, 16, v5
	v_bfe_u32 v29, v22, 20, 11
	s_delay_alu instid0(VALU_DEP_4)
	v_cmp_ne_u32_e64 s0, 0, v16
	v_lshrrev_b32_e32 v16, 8, v22
	v_lshlrev_b32_e32 v11, v11, v21
	global_store_b32 v[26:27], v5, off
	s_wait_alu 0xf1ff
	v_cndmask_b32_e64 v9, 0, 1, s0
	v_add_co_u32 v26, s0, v26, s10
	v_cmp_ne_u32_e64 s2, v11, v30
	v_fma_f16 v11, v33, v32, -v13
	s_delay_alu instid0(VALU_DEP_4)
	v_and_or_b32 v16, 0xffe, v16, v9
	v_sub_nc_u32_e32 v9, 0x3f1, v29
	s_wait_alu 0xf1ff
	v_add_co_ci_u32_e64 v27, s0, s11, v27, s0
	v_cvt_f32_f16_e32 v11, v11
	v_add_nc_u32_e32 v29, 0xfffffc10, v29
	v_med3_i32 v5, v9, 0, 13
	v_or_b32_e32 v9, 0x1000, v16
	s_delay_alu instid0(VALU_DEP_1)
	v_lshrrev_b32_e32 v30, v5, v9
	v_and_or_b32 v13, 0x1ff, v19, v18
	v_lshrrev_b32_e32 v28, 8, v19
	v_bfe_u32 v18, v19, 20, 11
	v_mul_f64_e32 v[24:25], s[6:7], v[24:25]
	v_lshlrev_b32_e32 v32, v5, v30
	v_cmp_ne_u32_e64 s0, 0, v13
	s_delay_alu instid0(VALU_DEP_2) | instskip(SKIP_1) | instid1(VALU_DEP_2)
	v_cmp_ne_u32_e64 s1, v32, v9
	s_wait_alu 0xf1ff
	v_cndmask_b32_e64 v13, 0, 1, s0
	s_delay_alu instid0(VALU_DEP_1) | instskip(SKIP_2) | instid1(VALU_DEP_2)
	v_and_or_b32 v5, 0xffe, v28, v13
	v_sub_nc_u32_e32 v13, 0x3f1, v18
	v_add_nc_u32_e32 v18, 0xfffffc10, v18
	v_med3_i32 v9, v13, 0, 13
	s_delay_alu instid0(VALU_DEP_4) | instskip(NEXT) | instid1(VALU_DEP_1)
	v_or_b32_e32 v13, 0x1000, v5
	v_lshrrev_b32_e32 v28, v9, v13
	s_delay_alu instid0(VALU_DEP_1) | instskip(NEXT) | instid1(VALU_DEP_1)
	v_lshlrev_b32_e32 v9, v9, v28
	v_cmp_ne_u32_e64 s0, v9, v13
	scratch_load_b32 v9, off, off offset:80 th:TH_LOAD_LU ; 4-byte Folded Reload
	s_wait_loadcnt 0x0
	v_mul_f16_e32 v33, v9, v35
	v_mul_f16_e32 v36, v9, v8
	v_lshrrev_b32_e32 v9, 8, v25
	s_delay_alu instid0(VALU_DEP_3) | instskip(SKIP_1) | instid1(VALU_DEP_1)
	v_fmac_f16_e32 v33, v39, v8
	v_and_or_b32 v8, 0x1ff, v25, v24
	v_cmp_ne_u32_e64 s3, 0, v8
	s_wait_alu 0xf1ff
	s_delay_alu instid0(VALU_DEP_1) | instskip(NEXT) | instid1(VALU_DEP_1)
	v_cndmask_b32_e64 v8, 0, 1, s3
	v_and_or_b32 v37, 0xffe, v9, v8
	v_cvt_f64_f32_e32 v[8:9], v11
	s_delay_alu instid0(VALU_DEP_1) | instskip(NEXT) | instid1(VALU_DEP_1)
	v_mul_f64_e32 v[8:9], s[6:7], v[8:9]
	v_and_or_b32 v8, 0x1ff, v9, v8
	v_lshrrev_b32_e32 v11, 8, v9
	s_delay_alu instid0(VALU_DEP_2) | instskip(SKIP_1) | instid1(VALU_DEP_1)
	v_cmp_ne_u32_e64 s3, 0, v8
	s_wait_alu 0xf1ff
	v_cndmask_b32_e64 v8, 0, 1, s3
	s_delay_alu instid0(VALU_DEP_1) | instskip(SKIP_3) | instid1(VALU_DEP_2)
	v_and_or_b32 v11, 0xffe, v11, v8
	s_wait_alu 0xfffd
	v_cndmask_b32_e64 v8, 0, 1, vcc_lo
	v_cmp_gt_i32_e32 vcc_lo, 1, v3
	v_or_b32_e32 v7, v7, v8
	v_lshl_or_b32 v8, v3, 12, v1
	s_wait_alu 0xfffd
	s_delay_alu instid0(VALU_DEP_1) | instskip(SKIP_4) | instid1(VALU_DEP_2)
	v_cndmask_b32_e32 v13, v8, v7, vcc_lo
	ds_load_2addr_stride64_b32 v[7:8], v58 offset0:56 offset1:58
	s_wait_dscnt 0x0
	v_lshrrev_b32_e32 v24, 16, v7
	v_mul_f16_e32 v32, v34, v7
	v_mul_f16_e32 v34, v34, v24
	s_delay_alu instid0(VALU_DEP_2) | instskip(NEXT) | instid1(VALU_DEP_2)
	v_fma_f16 v24, v38, v24, -v32
	v_fmac_f16_e32 v34, v38, v7
	v_and_b32_e32 v7, 7, v13
	v_lshrrev_b32_e32 v13, 2, v13
	s_delay_alu instid0(VALU_DEP_4)
	v_cvt_f32_f16_e32 v24, v24
	v_bfe_u32 v38, v25, 20, 11
	v_lshrrev_b32_e32 v25, 16, v25
	v_cmp_lt_i32_e32 vcc_lo, 5, v7
	v_cmp_eq_u32_e64 s3, 3, v7
	v_cndmask_b32_e64 v7, 0, 1, s2
	v_cmp_ne_u32_e64 s2, 0, v1
	v_add_nc_u32_e32 v1, 0xfffffc10, v14
	s_delay_alu instid0(VALU_DEP_4) | instskip(NEXT) | instid1(VALU_DEP_3)
	s_or_b32 vcc_lo, s3, vcc_lo
	v_or_b32_e32 v7, v21, v7
	s_wait_alu 0xfffe
	v_add_co_ci_u32_e32 v13, vcc_lo, 0, v13, vcc_lo
	v_lshl_or_b32 v14, v1, 12, v31
	v_cmp_gt_i32_e64 s4, 1, v1
	v_cmp_gt_i32_e32 vcc_lo, 31, v3
	v_lshrrev_b32_e32 v21, 16, v23
	s_wait_alu 0xf1ff
	s_delay_alu instid0(VALU_DEP_3) | instskip(SKIP_4) | instid1(VALU_DEP_3)
	v_cndmask_b32_e64 v7, v14, v7, s4
	v_cndmask_b32_e64 v14, 0, 1, s2
	s_wait_alu 0xfffd
	v_cndmask_b32_e32 v13, 0x7c00, v13, vcc_lo
	v_cmp_eq_u32_e32 vcc_lo, 0x40f, v3
	v_lshl_or_b32 v14, v14, 9, 0x7c00
	s_wait_alu 0xfffd
	s_delay_alu instid0(VALU_DEP_1) | instskip(SKIP_2) | instid1(VALU_DEP_3)
	v_cndmask_b32_e32 v3, v13, v14, vcc_lo
	v_and_b32_e32 v13, 7, v7
	v_lshrrev_b32_e32 v7, 2, v7
	v_and_or_b32 v3, 0x8000, v21, v3
	s_delay_alu instid0(VALU_DEP_3) | instskip(SKIP_2) | instid1(VALU_DEP_4)
	v_cmp_lt_i32_e32 vcc_lo, 5, v13
	v_cmp_eq_u32_e64 s2, 3, v13
	v_cvt_f32_f16_e32 v13, v34
	v_and_b32_e32 v3, 0xffff, v3
	s_delay_alu instid0(VALU_DEP_3) | instskip(NEXT) | instid1(VALU_DEP_2)
	s_or_b32 vcc_lo, s2, vcc_lo
	v_cvt_f64_f32_e32 v[13:14], v13
	s_wait_alu 0xfffe
	v_add_co_ci_u32_e32 v7, vcc_lo, 0, v7, vcc_lo
	v_cmp_ne_u32_e32 vcc_lo, 0, v31
	v_cvt_f64_f32_e32 v[31:32], v24
	s_wait_alu 0xfffd
	v_cndmask_b32_e64 v23, 0, 1, vcc_lo
	v_cmp_gt_i32_e32 vcc_lo, 31, v1
	s_delay_alu instid0(VALU_DEP_2)
	v_lshl_or_b32 v23, v23, 9, 0x7c00
	s_wait_alu 0xfffd
	v_cndmask_b32_e32 v7, 0x7c00, v7, vcc_lo
	v_cmp_eq_u32_e32 vcc_lo, 0x40f, v1
	v_cvt_f32_f16_e32 v1, v33
	s_wait_alu 0xfffd
	s_delay_alu instid0(VALU_DEP_3) | instskip(NEXT) | instid1(VALU_DEP_2)
	v_cndmask_b32_e32 v7, v7, v23, vcc_lo
	v_cvt_f64_f32_e32 v[33:34], v1
	v_lshrrev_b32_e32 v1, 16, v20
	s_delay_alu instid0(VALU_DEP_1) | instskip(SKIP_1) | instid1(VALU_DEP_2)
	v_and_or_b32 v1, 0x8000, v1, v7
	v_or_b32_e32 v7, 0x1000, v37
	v_lshl_or_b32 v1, v1, 16, v3
	global_store_b32 v[26:27], v1, off
	v_mul_f64_e32 v[23:24], s[6:7], v[13:14]
	v_sub_nc_u32_e32 v13, 0x3f1, v38
	v_add_co_u32 v26, vcc_lo, v26, s10
	v_mul_f64_e32 v[20:21], s[6:7], v[31:32]
	v_fma_f16 v32, v39, v35, -v36
	s_delay_alu instid0(VALU_DEP_4)
	v_med3_i32 v31, v13, 0, 13
	scratch_load_b32 v35, off, off offset:68 th:TH_LOAD_LU ; 4-byte Folded Reload
	s_wait_alu 0xfffd
	v_add_co_ci_u32_e32 v27, vcc_lo, s11, v27, vcc_lo
	v_lshrrev_b32_e32 v1, 16, v15
	v_lshrrev_b32_e32 v3, v31, v7
	s_delay_alu instid0(VALU_DEP_1) | instskip(NEXT) | instid1(VALU_DEP_1)
	v_lshlrev_b32_e32 v31, v31, v3
	v_cmp_ne_u32_e32 vcc_lo, v31, v7
	v_add_nc_u32_e32 v31, 0xfffffc10, v38
	scratch_load_b32 v38, off, off offset:64 th:TH_LOAD_LU ; 4-byte Folded Reload
	v_mul_f64_e32 v[13:14], s[6:7], v[33:34]
	v_bfe_u32 v33, v9, 20, 11
	v_lshrrev_b32_e32 v9, 16, v9
	v_and_or_b32 v7, 0x1ff, v24, v23
	s_wait_alu 0xfffd
	v_cndmask_b32_e64 v23, 0, 1, vcc_lo
	v_and_or_b32 v20, 0x1ff, v21, v20
	s_delay_alu instid0(VALU_DEP_3) | instskip(NEXT) | instid1(VALU_DEP_3)
	v_cmp_ne_u32_e32 vcc_lo, 0, v7
	v_or_b32_e32 v3, v3, v23
	v_lshl_or_b32 v23, v31, 12, v37
	s_wait_alu 0xfffd
	v_cndmask_b32_e64 v7, 0, 1, vcc_lo
	v_cmp_gt_i32_e32 vcc_lo, 1, v31
	s_wait_alu 0xfffd
	v_cndmask_b32_e32 v23, v23, v3, vcc_lo
	v_lshrrev_b32_e32 v3, 8, v24
	v_cmp_ne_u32_e32 vcc_lo, 0, v20
	s_delay_alu instid0(VALU_DEP_2)
	v_and_or_b32 v20, 0xffe, v3, v7
	s_wait_alu 0xfffd
	v_cndmask_b32_e64 v36, 0, 1, vcc_lo
	v_and_or_b32 v13, 0x1ff, v14, v13
	v_and_b32_e32 v7, 7, v23
	v_lshrrev_b32_e32 v23, 2, v23
	v_bfe_u32 v40, v14, 20, 11
	s_delay_alu instid0(VALU_DEP_4) | instskip(SKIP_2) | instid1(VALU_DEP_2)
	v_cmp_ne_u32_e32 vcc_lo, 0, v13
	v_cndmask_b32_e64 v13, 0, 1, s1
	v_cmp_eq_u32_e64 s1, 3, v7
	v_or_b32_e32 v13, v30, v13
	v_lshl_or_b32 v30, v29, 12, v16
	s_wait_loadcnt 0x1
	v_mul_f16_e32 v34, v35, v1
	v_mul_f16_e32 v35, v35, v15
	s_wait_loadcnt 0x0
	s_delay_alu instid0(VALU_DEP_1)
	v_fma_f16 v35, v38, v1, -v35
	v_lshrrev_b32_e32 v1, 8, v21
	v_fmac_f16_e32 v34, v38, v15
	v_sub_nc_u32_e32 v15, 0x3f1, v33
	v_add_nc_u32_e32 v33, 0xfffffc10, v33
	v_or_b32_e32 v38, 0x1000, v20
	v_and_or_b32 v3, 0xffe, v1, v36
	s_wait_alu 0xfffd
	v_cndmask_b32_e64 v1, 0, 1, vcc_lo
	v_cmp_lt_i32_e32 vcc_lo, 5, v7
	v_med3_i32 v15, v15, 0, 13
	v_lshrrev_b32_e32 v7, 8, v14
	v_lshrrev_b32_e32 v14, 16, v14
	s_or_b32 vcc_lo, s1, vcc_lo
	s_wait_alu 0xfffe
	v_add_co_ci_u32_e32 v23, vcc_lo, 0, v23, vcc_lo
	v_cmp_ne_u32_e32 vcc_lo, 0, v37
	v_and_or_b32 v1, 0xffe, v7, v1
	v_bfe_u32 v7, v24, 20, 11
	v_lshrrev_b32_e32 v24, 16, v24
	s_wait_alu 0xfffd
	v_cndmask_b32_e64 v36, 0, 1, vcc_lo
	v_cmp_gt_i32_e32 vcc_lo, 1, v29
	v_sub_nc_u32_e32 v37, 0x3f1, v7
	v_or_b32_e32 v43, 0x1000, v1
	s_delay_alu instid0(VALU_DEP_4)
	v_lshl_or_b32 v36, v36, 9, 0x7c00
	s_wait_alu 0xfffd
	v_cndmask_b32_e32 v13, v30, v13, vcc_lo
	v_cmp_gt_i32_e32 vcc_lo, 31, v31
	v_or_b32_e32 v30, 0x1000, v11
	v_med3_i32 v37, v37, 0, 13
	s_wait_alu 0xfffd
	v_cndmask_b32_e32 v23, 0x7c00, v23, vcc_lo
	v_cmp_eq_u32_e32 vcc_lo, 0x40f, v31
	v_and_b32_e32 v31, 7, v13
	v_lshrrev_b32_e32 v13, 2, v13
	v_lshrrev_b32_e32 v39, v37, v38
	s_wait_alu 0xfffd
	v_cndmask_b32_e32 v23, v23, v36, vcc_lo
	v_cmp_lt_i32_e32 vcc_lo, 5, v31
	v_cmp_eq_u32_e64 s1, 3, v31
	v_cndmask_b32_e64 v31, 0, 1, s0
	v_lshrrev_b32_e32 v36, v15, v30
	v_and_or_b32 v25, 0x8000, v25, v23
	v_lshlrev_b32_e32 v37, v37, v39
	s_or_b32 vcc_lo, s1, vcc_lo
	v_or_b32_e32 v28, v28, v31
	s_wait_alu 0xfffe
	v_add_co_ci_u32_e32 v13, vcc_lo, 0, v13, vcc_lo
	v_cmp_ne_u32_e32 vcc_lo, 0, v16
	v_lshl_or_b32 v31, v18, 12, v5
	v_lshlrev_b32_e32 v15, v15, v36
	s_wait_alu 0xfffd
	v_cndmask_b32_e64 v16, 0, 1, vcc_lo
	v_cmp_gt_i32_e32 vcc_lo, 1, v18
	s_wait_alu 0xfffd
	v_cndmask_b32_e32 v28, v31, v28, vcc_lo
	v_cmp_gt_i32_e32 vcc_lo, 31, v29
	v_cvt_f32_f16_e32 v31, v32
	v_lshl_or_b32 v32, v16, 9, 0x7c00
	s_wait_alu 0xfffd
	v_cndmask_b32_e32 v13, 0x7c00, v13, vcc_lo
	v_cmp_ne_u32_e32 vcc_lo, v15, v30
	v_cvt_f64_f32_e32 v[15:16], v31
	v_lshrrev_b32_e32 v31, 16, v22
	v_cvt_f32_f16_e32 v22, v34
	v_lshrrev_b32_e32 v34, 16, v6
	s_wait_alu 0xfffd
	v_cndmask_b32_e64 v30, 0, 1, vcc_lo
	v_cmp_eq_u32_e32 vcc_lo, 0x40f, v29
	v_cvt_f64_f32_e32 v[22:23], v22
	s_delay_alu instid0(VALU_DEP_3)
	v_or_b32_e32 v29, v36, v30
	s_wait_alu 0xfffd
	v_cndmask_b32_e32 v13, v13, v32, vcc_lo
	v_lshl_or_b32 v30, v33, 12, v11
	v_and_b32_e32 v32, 7, v28
	v_cmp_gt_i32_e32 vcc_lo, 1, v33
	v_lshrrev_b32_e32 v28, 2, v28
	v_and_or_b32 v13, 0x8000, v31, v13
	v_mul_f16_e32 v31, v45, v34
	v_cmp_eq_u32_e64 s0, 3, v32
	s_wait_alu 0xfffd
	v_cndmask_b32_e32 v30, v30, v29, vcc_lo
	v_cmp_lt_i32_e32 vcc_lo, 5, v32
	v_cvt_f32_f16_e32 v32, v35
	v_fmac_f16_e32 v31, v46, v6
	v_bfe_u32 v36, v21, 20, 11
	v_and_b32_e32 v29, 7, v30
	s_or_b32 vcc_lo, s0, vcc_lo
	v_cmp_eq_u32_e64 s0, 0x40f, v18
	s_wait_alu 0xfffe
	v_add_co_ci_u32_e32 v28, vcc_lo, 0, v28, vcc_lo
	v_cmp_ne_u32_e32 vcc_lo, 0, v5
	v_cmp_lt_i32_e64 s1, 5, v29
	v_mul_f16_e32 v6, v45, v6
	v_lshrrev_b32_e32 v21, 16, v21
	s_wait_alu 0xfffd
	v_cndmask_b32_e64 v5, 0, 1, vcc_lo
	v_cmp_gt_i32_e32 vcc_lo, 31, v18
	v_lshrrev_b32_e32 v18, 2, v30
	v_fma_f16 v6, v46, v34, -v6
	s_delay_alu instid0(VALU_DEP_4)
	v_lshl_or_b32 v5, v5, 9, 0x7c00
	s_wait_alu 0xfffd
	v_cndmask_b32_e32 v35, 0x7c00, v28, vcc_lo
	v_cmp_eq_u32_e32 vcc_lo, 3, v29
	v_cvt_f64_f32_e32 v[28:29], v32
	v_cvt_f32_f16_e32 v32, v31
	v_mul_f64_e32 v[30:31], s[6:7], v[15:16]
	s_wait_alu 0xf1ff
	v_cndmask_b32_e64 v5, v35, v5, s0
	s_or_b32 vcc_lo, vcc_lo, s1
	v_lshrrev_b32_e32 v35, 16, v19
	s_wait_alu 0xfffe
	v_add_co_ci_u32_e32 v18, vcc_lo, 0, v18, vcc_lo
	v_cmp_ne_u32_e32 vcc_lo, 0, v11
	v_cvt_f64_f32_e32 v[15:16], v32
	v_and_or_b32 v5, 0x8000, v35, v5
	v_sub_nc_u32_e32 v32, 0x3f1, v36
	v_add_nc_u32_e32 v36, 0xfffffc10, v36
	s_wait_alu 0xfffd
	v_cndmask_b32_e64 v11, 0, 1, vcc_lo
	v_cmp_gt_i32_e32 vcc_lo, 31, v33
	v_and_b32_e32 v5, 0xffff, v5
	v_med3_i32 v42, v32, 0, 13
	v_cvt_f32_f16_e32 v6, v6
	v_lshl_or_b32 v11, v11, 9, 0x7c00
	s_wait_alu 0xfffd
	v_cndmask_b32_e32 v41, 0x7c00, v18, vcc_lo
	v_cmp_eq_u32_e32 vcc_lo, 0x40f, v33
	v_mul_f64_e32 v[18:19], s[6:7], v[22:23]
	v_and_b32_e32 v23, 0xffff, v25
	v_sub_nc_u32_e32 v22, 0x3f1, v40
	s_wait_alu 0xfffd
	v_dual_cndmask_b32 v11, v41, v11 :: v_dual_add_nc_u32 v40, 0xfffffc10, v40
	v_add_co_u32 v32, vcc_lo, v26, s10
	v_lshl_or_b32 v13, v13, 16, v23
	s_wait_alu 0xfffd
	v_add_co_ci_u32_e32 v33, vcc_lo, s11, v27, vcc_lo
	v_and_or_b32 v9, 0x8000, v9, v11
	v_med3_i32 v35, v22, 0, 13
	v_add_co_u32 v25, vcc_lo, v32, s10
	v_or_b32_e32 v41, 0x1000, v3
	s_delay_alu instid0(VALU_DEP_4)
	v_lshl_or_b32 v5, v9, 16, v5
	global_store_b32 v[26:27], v13, off
	global_store_b32 v[32:33], v5, off
	v_mul_f64_e32 v[22:23], s[6:7], v[28:29]
	s_clause 0x1
	scratch_load_b32 v28, off, off offset:52 th:TH_LOAD_LU
	scratch_load_b32 v46, off, off offset:48 th:TH_LOAD_LU
	v_and_or_b32 v5, 0x1ff, v31, v30
	s_wait_alu 0xfffd
	v_add_co_ci_u32_e32 v26, vcc_lo, s11, v33, vcc_lo
	v_mul_f64_e32 v[15:16], s[6:7], v[15:16]
	v_lshrrev_b32_e32 v11, 8, v31
	v_cmp_ne_u32_e32 vcc_lo, 0, v5
	v_lshrrev_b32_e32 v44, v35, v43
	v_lshrrev_b32_e32 v27, 16, v17
	v_bfe_u32 v30, v31, 20, 11
	v_lshrrev_b32_e32 v9, v42, v41
	s_wait_alu 0xfffd
	v_cndmask_b32_e64 v5, 0, 1, vcc_lo
	v_lshlrev_b32_e32 v34, v35, v44
	v_cmp_gt_i32_e64 s1, 31, v40
	v_sub_nc_u32_e32 v13, 0x3f1, v30
	v_lshlrev_b32_e32 v33, v42, v9
	v_and_or_b32 v18, 0x1ff, v19, v18
	v_and_or_b32 v45, 0xffe, v11, v5
	v_add_nc_u32_e32 v30, 0xfffffc10, v30
	v_med3_i32 v5, v13, 0, 13
	v_bfe_u32 v13, v19, 20, 11
	v_cmp_ne_u32_e32 vcc_lo, 0, v18
	v_lshrrev_b32_e32 v18, 8, v19
	v_lshrrev_b32_e32 v19, 16, v19
	s_delay_alu instid0(VALU_DEP_4)
	v_sub_nc_u32_e32 v29, 0x3f1, v13
	s_wait_alu 0xfffd
	v_cndmask_b32_e64 v11, 0, 1, vcc_lo
	v_cmp_ne_u32_e32 vcc_lo, v37, v38
	v_add_nc_u32_e32 v37, 0xfffffc10, v7
	v_med3_i32 v29, v29, 0, 13
	s_delay_alu instid0(VALU_DEP_4) | instskip(SKIP_3) | instid1(VALU_DEP_3)
	v_and_or_b32 v11, 0xffe, v18, v11
	s_wait_alu 0xfffd
	v_cndmask_b32_e64 v35, 0, 1, vcc_lo
	v_and_or_b32 v7, 0x1ff, v23, v22
	v_or_b32_e32 v22, 0x1000, v11
	s_delay_alu instid0(VALU_DEP_2)
	v_cmp_ne_u32_e32 vcc_lo, 0, v7
	v_and_or_b32 v15, 0x1ff, v16, v15
	s_wait_alu 0xfffd
	v_cndmask_b32_e64 v7, 0, 1, vcc_lo
	v_cmp_gt_i32_e32 vcc_lo, 1, v37
	s_wait_loadcnt 0x1
	v_mul_f16_e32 v32, v28, v27
	v_mul_f16_e32 v28, v28, v17
	s_wait_loadcnt 0x0
	s_delay_alu instid0(VALU_DEP_2) | instskip(NEXT) | instid1(VALU_DEP_2)
	v_fmac_f16_e32 v32, v46, v17
	v_fma_f16 v38, v46, v27, -v28
	v_or_b32_e32 v27, v39, v35
	v_lshl_or_b32 v28, v37, 12, v20
	v_or_b32_e32 v17, 0x1000, v45
	v_cvt_f32_f16_e32 v32, v32
	s_wait_alu 0xfffd
	s_delay_alu instid0(VALU_DEP_3) | instskip(SKIP_3) | instid1(VALU_DEP_4)
	v_cndmask_b32_e32 v35, v28, v27, vcc_lo
	v_cmp_ne_u32_e32 vcc_lo, 0, v15
	v_lshrrev_b32_e32 v18, v5, v17
	v_lshrrev_b32_e32 v27, 8, v23
	v_and_b32_e32 v39, 7, v35
	s_wait_alu 0xfffd
	v_cndmask_b32_e64 v28, 0, 1, vcc_lo
	v_cmp_ne_u32_e32 vcc_lo, v33, v41
	v_lshrrev_b32_e32 v33, 8, v16
	v_lshlrev_b32_e32 v41, v5, v18
	v_cmp_lt_i32_e64 s0, 5, v39
	v_and_or_b32 v15, 0xffe, v27, v7
	s_wait_alu 0xfffd
	v_cndmask_b32_e64 v5, 0, 1, vcc_lo
	v_cmp_eq_u32_e32 vcc_lo, 3, v39
	v_and_or_b32 v7, 0xffe, v33, v28
	v_lshrrev_b32_e32 v33, 2, v35
	v_bfe_u32 v28, v23, 20, 11
	v_or_b32_e32 v5, v9, v5
	s_or_b32 vcc_lo, vcc_lo, s0
	v_lshl_or_b32 v9, v36, 12, v3
	s_wait_alu 0xfffe
	v_add_co_ci_u32_e32 v33, vcc_lo, 0, v33, vcc_lo
	v_cmp_ne_u32_e32 vcc_lo, 0, v20
	v_lshrrev_b32_e32 v27, v29, v22
	s_wait_alu 0xfffd
	v_cndmask_b32_e64 v20, 0, 1, vcc_lo
	v_cmp_gt_i32_e32 vcc_lo, 1, v36
	s_delay_alu instid0(VALU_DEP_2)
	v_lshl_or_b32 v35, v20, 9, 0x7c00
	s_wait_alu 0xfffd
	v_cndmask_b32_e32 v5, v9, v5, vcc_lo
	v_cmp_gt_i32_e32 vcc_lo, 31, v37
	v_sub_nc_u32_e32 v9, 0x3f1, v28
	v_lshlrev_b32_e32 v20, v29, v27
	v_or_b32_e32 v29, 0x1000, v15
	v_add_nc_u32_e32 v28, 0xfffffc10, v28
	s_wait_alu 0xfffd
	v_cndmask_b32_e32 v33, 0x7c00, v33, vcc_lo
	v_cmp_eq_u32_e32 vcc_lo, 0x40f, v37
	v_and_b32_e32 v37, 7, v5
	v_lshrrev_b32_e32 v5, 2, v5
	v_med3_i32 v39, v9, 0, 13
	v_bfe_u32 v9, v16, 20, 11
	s_wait_alu 0xfffd
	v_cndmask_b32_e32 v35, v33, v35, vcc_lo
	v_cmp_lt_i32_e32 vcc_lo, 5, v37
	v_cmp_eq_u32_e64 s0, 3, v37
	v_lshrrev_b32_e32 v16, 16, v16
	v_sub_nc_u32_e32 v33, 0x3f1, v9
	v_and_or_b32 v24, 0x8000, v24, v35
	v_add_nc_u32_e32 v9, 0xfffffc10, v9
	s_or_b32 vcc_lo, s0, vcc_lo
	v_cmp_gt_i32_e64 s0, 1, v30
	s_wait_alu 0xfffe
	v_add_co_ci_u32_e32 v37, vcc_lo, 0, v5, vcc_lo
	v_cmp_ne_u32_e32 vcc_lo, v34, v43
	v_med3_i32 v42, v33, 0, 13
	v_cvt_f64_f32_e32 v[5:6], v6
	s_wait_alu 0xfffd
	v_cndmask_b32_e64 v34, 0, 1, vcc_lo
	v_cmp_gt_i32_e32 vcc_lo, 31, v36
	s_delay_alu instid0(VALU_DEP_2)
	v_or_b32_e32 v33, v44, v34
	s_wait_alu 0xfffd
	v_cndmask_b32_e32 v37, 0x7c00, v37, vcc_lo
	v_cmp_ne_u32_e32 vcc_lo, 0, v3
	v_lshl_or_b32 v34, v40, 12, v1
	s_wait_alu 0xfffd
	v_cndmask_b32_e64 v3, 0, 1, vcc_lo
	v_cmp_gt_i32_e32 vcc_lo, 1, v40
	s_delay_alu instid0(VALU_DEP_2) | instskip(SKIP_4) | instid1(VALU_DEP_3)
	v_lshl_or_b32 v3, v3, 9, 0x7c00
	s_wait_alu 0xfffd
	v_cndmask_b32_e32 v34, v34, v33, vcc_lo
	v_cmp_ne_u32_e32 vcc_lo, v41, v17
	v_cvt_f64_f32_e32 v[32:33], v32
	v_and_b32_e32 v41, 7, v34
	s_wait_alu 0xfffd
	v_cndmask_b32_e64 v17, 0, 1, vcc_lo
	v_cmp_eq_u32_e32 vcc_lo, 0x40f, v36
	v_or_b32_e32 v36, 0x1000, v7
	s_delay_alu instid0(VALU_DEP_3)
	v_or_b32_e32 v17, v18, v17
	v_lshl_or_b32 v18, v30, 12, v45
	s_wait_alu 0xfffd
	v_cndmask_b32_e32 v3, v37, v3, vcc_lo
	v_cmp_lt_i32_e32 vcc_lo, 5, v41
	s_wait_alu 0xf1ff
	v_cndmask_b32_e64 v17, v18, v17, s0
	v_cmp_eq_u32_e64 s0, 3, v41
	v_lshrrev_b32_e32 v18, 2, v34
	v_and_or_b32 v3, 0x8000, v21, v3
	s_delay_alu instid0(VALU_DEP_4) | instskip(NEXT) | instid1(VALU_DEP_4)
	v_and_b32_e32 v34, 7, v17
	s_or_b32 vcc_lo, s0, vcc_lo
	s_wait_alu 0xfffe
	v_add_co_ci_u32_e32 v35, vcc_lo, 0, v18, vcc_lo
	v_cmp_ne_u32_e32 vcc_lo, 0, v1
	v_cmp_eq_u32_e64 s0, 3, v34
	s_wait_alu 0xfffd
	v_cndmask_b32_e64 v1, 0, 1, vcc_lo
	v_cmp_lt_i32_e32 vcc_lo, 5, v34
	v_lshrrev_b32_e32 v34, 2, v17
	v_mul_f64_e32 v[17:18], s[6:7], v[5:6]
	v_cndmask_b32_e64 v5, 0x7c00, v35, s1
	v_lshl_or_b32 v1, v1, 9, 0x7c00
	s_or_b32 vcc_lo, s0, vcc_lo
	s_wait_alu 0xfffe
	v_add_co_ci_u32_e32 v6, vcc_lo, 0, v34, vcc_lo
	v_cmp_ne_u32_e32 vcc_lo, 0, v45
	s_wait_alu 0xfffd
	v_cndmask_b32_e64 v34, 0, 1, vcc_lo
	v_cmp_eq_u32_e32 vcc_lo, 0x40f, v40
	s_delay_alu instid0(VALU_DEP_2) | instskip(SKIP_3) | instid1(VALU_DEP_2)
	v_lshl_or_b32 v34, v34, 9, 0x7c00
	s_wait_alu 0xfffd
	v_cndmask_b32_e32 v1, v5, v1, vcc_lo
	v_cmp_gt_i32_e32 vcc_lo, 31, v30
	v_and_or_b32 v1, 0x8000, v14, v1
	s_wait_alu 0xfffd
	v_cndmask_b32_e32 v35, 0x7c00, v6, vcc_lo
	v_cmp_eq_u32_e32 vcc_lo, 0x40f, v30
	v_mul_f64_e32 v[5:6], s[6:7], v[32:33]
	v_lshrrev_b32_e32 v32, 16, v31
	v_mad_co_u64_u32 v[30:31], null, 0xffffcc00, s8, v[25:26]
	s_wait_alu 0xfffd
	v_dual_cndmask_b32 v21, v35, v34 :: v_dual_and_b32 v14, 0xffff, v24
	v_and_b32_e32 v1, 0xffff, v1
	v_lshrrev_b32_e32 v34, v39, v29
	v_cvt_f32_f16_e32 v24, v38
	s_delay_alu instid0(VALU_DEP_4)
	v_and_or_b32 v21, 0x8000, v32, v21
	v_lshl_or_b32 v3, v3, 16, v14
	v_add_nc_u32_e32 v31, s9, v31
	v_lshlrev_b32_e32 v14, v39, v34
	v_lshrrev_b32_e32 v35, v42, v36
	v_lshl_or_b32 v1, v21, 16, v1
	global_store_b32 v[25:26], v3, off
	global_store_b32 v[30:31], v1, off
	s_clause 0x1
	scratch_load_b32 v39, off, off offset:44 th:TH_LOAD_LU
	scratch_load_b32 v38, off, off offset:40 th:TH_LOAD_LU
	v_lshrrev_b32_e32 v21, 16, v4
	v_lshlrev_b32_e32 v37, v42, v35
	scratch_load_b32 v42, off, off offset:32 th:TH_LOAD_LU ; 4-byte Folded Reload
	v_and_or_b32 v1, 0x1ff, v18, v17
	v_cvt_f64_f32_e32 v[32:33], v24
	v_add_co_u32 v24, vcc_lo, v30, s10
	s_wait_alu 0xfffd
	v_add_co_ci_u32_e32 v25, vcc_lo, s11, v31, vcc_lo
	v_cmp_ne_u32_e32 vcc_lo, 0, v1
	v_bfe_u32 v17, v18, 20, 11
	v_lshrrev_b32_e32 v26, 8, v18
	s_wait_alu 0xfffd
	v_cndmask_b32_e64 v1, 0, 1, vcc_lo
	s_delay_alu instid0(VALU_DEP_3) | instskip(SKIP_2) | instid1(VALU_DEP_4)
	v_sub_nc_u32_e32 v30, 0x3f1, v17
	v_add_nc_u32_e32 v17, 0xfffffc10, v17
	v_and_or_b32 v5, 0x1ff, v6, v5
	v_and_or_b32 v1, 0xffe, v26, v1
	s_delay_alu instid0(VALU_DEP_4) | instskip(NEXT) | instid1(VALU_DEP_3)
	v_med3_i32 v26, v30, 0, 13
	v_cmp_ne_u32_e32 vcc_lo, 0, v5
	s_wait_alu 0xfffd
	v_cndmask_b32_e64 v5, 0, 1, vcc_lo
	v_cmp_ne_u32_e32 vcc_lo, v20, v22
	v_add_nc_u32_e32 v22, 0xfffffc10, v13
	s_wait_alu 0xfffd
	v_cndmask_b32_e64 v20, 0, 1, vcc_lo
	v_cmp_ne_u32_e32 vcc_lo, v14, v29
	v_lshrrev_b32_e32 v29, 8, v6
	s_delay_alu instid0(VALU_DEP_3)
	v_or_b32_e32 v20, v27, v20
	s_wait_alu 0xfffd
	v_cndmask_b32_e64 v13, 0, 1, vcc_lo
	v_lshl_or_b32 v27, v22, 12, v11
	v_cmp_gt_i32_e32 vcc_lo, 1, v22
	v_and_or_b32 v29, 0xffe, v29, v5
	s_delay_alu instid0(VALU_DEP_4)
	v_or_b32_e32 v30, v34, v13
	v_mul_f64_e32 v[13:14], s[6:7], v[32:33]
	s_wait_alu 0xfffd
	v_cndmask_b32_e32 v27, v27, v20, vcc_lo
	v_cmp_gt_i32_e32 vcc_lo, 1, v28
	v_bfe_u32 v32, v6, 20, 11
	v_or_b32_e32 v33, 0x1000, v1
	v_lshrrev_b32_e32 v6, 16, v6
	s_delay_alu instid0(VALU_DEP_3)
	v_sub_nc_u32_e32 v34, 0x3f1, v32
	v_and_or_b32 v13, 0x1ff, v14, v13
	s_wait_loadcnt 0x2
	v_mul_f16_e32 v3, v39, v21
	v_mul_f16_e32 v31, v39, v4
	s_wait_loadcnt 0x1
	s_delay_alu instid0(VALU_DEP_2) | instskip(NEXT) | instid1(VALU_DEP_2)
	v_fmac_f16_e32 v3, v38, v4
	v_fma_f16 v21, v38, v21, -v31
	v_lshl_or_b32 v31, v28, 12, v15
	s_delay_alu instid0(VALU_DEP_3) | instskip(NEXT) | instid1(VALU_DEP_3)
	v_cvt_f32_f16_e32 v3, v3
	v_cvt_f32_f16_e32 v21, v21
	s_wait_alu 0xfffd
	s_delay_alu instid0(VALU_DEP_3) | instskip(SKIP_3) | instid1(VALU_DEP_4)
	v_dual_cndmask_b32 v30, v31, v30 :: v_dual_and_b32 v31, 7, v27
	v_lshrrev_b32_e32 v27, 2, v27
	v_cvt_f64_f32_e32 v[3:4], v3
	v_cvt_f64_f32_e32 v[20:21], v21
	v_and_b32_e32 v5, 7, v30
	v_cmp_lt_i32_e32 vcc_lo, 5, v31
	v_cmp_eq_u32_e64 s0, 3, v31
	v_lshrrev_b32_e32 v30, 2, v30
	v_med3_i32 v31, v34, 0, 13
	v_cmp_lt_i32_e64 s1, 5, v5
	v_cmp_eq_u32_e64 s2, 3, v5
	s_or_b32 vcc_lo, s0, vcc_lo
	s_wait_alu 0xfffe
	v_add_co_ci_u32_e32 v27, vcc_lo, 0, v27, vcc_lo
	v_cmp_ne_u32_e32 vcc_lo, 0, v11
	v_mul_f64_e32 v[4:5], s[6:7], v[3:4]
	s_wait_alu 0xfffd
	v_cndmask_b32_e64 v3, 0, 1, vcc_lo
	s_or_b32 vcc_lo, s2, s1
	v_cmp_gt_i32_e64 s1, 1, v17
	s_wait_alu 0xfffe
	v_add_co_ci_u32_e32 v11, vcc_lo, 0, v30, vcc_lo
	v_cmp_ne_u32_e32 vcc_lo, 0, v15
	v_lshl_or_b32 v3, v3, 9, 0x7c00
	s_wait_alu 0xfffd
	v_cndmask_b32_e64 v15, 0, 1, vcc_lo
	v_cmp_gt_i32_e32 vcc_lo, 31, v22
	s_delay_alu instid0(VALU_DEP_2)
	v_lshl_or_b32 v15, v15, 9, 0x7c00
	s_wait_alu 0xfffd
	v_cndmask_b32_e32 v27, 0x7c00, v27, vcc_lo
	v_cmp_gt_i32_e32 vcc_lo, 31, v28
	s_wait_alu 0xfffd
	v_cndmask_b32_e32 v11, 0x7c00, v11, vcc_lo
	v_cmp_eq_u32_e32 vcc_lo, 0x40f, v22
	v_lshrrev_b32_e32 v22, 8, v14
	s_wait_alu 0xfffd
	v_cndmask_b32_e32 v3, v27, v3, vcc_lo
	v_cmp_eq_u32_e32 vcc_lo, 0x40f, v28
	s_delay_alu instid0(VALU_DEP_2)
	v_and_or_b32 v3, 0x8000, v19, v3
	s_wait_alu 0xfffd
	v_cndmask_b32_e32 v11, v11, v15, vcc_lo
	v_lshrrev_b32_e32 v15, 16, v23
	v_cmp_ne_u32_e32 vcc_lo, 0, v13
	v_and_or_b32 v4, 0x1ff, v5, v4
	v_and_b32_e32 v3, 0xffff, v3
	v_lshrrev_b32_e32 v38, 8, v5
	v_and_or_b32 v11, 0x8000, v15, v11
	s_wait_alu 0xfffd
	v_cndmask_b32_e64 v13, 0, 1, vcc_lo
	v_cmp_ne_u32_e32 vcc_lo, 0, v4
	v_mul_f64_e32 v[19:20], s[6:7], v[20:21]
	v_or_b32_e32 v23, 0x1000, v29
	v_lshl_or_b32 v3, v11, 16, v3
	v_and_or_b32 v13, 0xffe, v22, v13
	s_wait_alu 0xfffd
	v_cndmask_b32_e64 v34, 0, 1, vcc_lo
	v_lshrrev_b32_e32 v22, v26, v33
	v_lshrrev_b32_e32 v27, v31, v23
	global_store_b32 v[24:25], v3, off
	v_add_co_u32 v3, vcc_lo, v24, s10
	s_wait_alu 0xfffd
	v_add_co_ci_u32_e32 v4, vcc_lo, s11, v25, vcc_lo
	v_and_or_b32 v25, 0xffe, v38, v34
	scratch_load_b32 v38, off, off offset:36 th:TH_LOAD_LU ; 4-byte Folded Reload
	v_lshlrev_b32_e32 v28, v31, v27
	v_lshrrev_b32_e32 v31, 16, v10
	v_cmp_ne_u32_e32 vcc_lo, v37, v36
	v_lshlrev_b32_e32 v26, v26, v22
	v_bfe_u32 v21, v14, 20, 11
	v_bfe_u32 v39, v5, 20, 11
	v_or_b32_e32 v40, 0x1000, v25
	s_wait_alu 0xfffd
	v_cndmask_b32_e64 v36, 0, 1, vcc_lo
	v_lshrrev_b32_e32 v14, 16, v14
	v_sub_nc_u32_e32 v15, 0x3f1, v21
	v_sub_nc_u32_e32 v24, 0x3f1, v39
	s_delay_alu instid0(VALU_DEP_2) | instskip(SKIP_1) | instid1(VALU_DEP_3)
	v_med3_i32 v11, v15, 0, 13
	v_or_b32_e32 v15, 0x1000, v13
	v_med3_i32 v24, v24, 0, 13
	s_delay_alu instid0(VALU_DEP_2) | instskip(NEXT) | instid1(VALU_DEP_2)
	v_lshrrev_b32_e32 v30, v11, v15
	v_lshrrev_b32_e32 v37, v24, v40
	v_and_or_b32 v19, 0x1ff, v20, v19
	s_delay_alu instid0(VALU_DEP_3) | instskip(NEXT) | instid1(VALU_DEP_3)
	v_lshlrev_b32_e32 v11, v11, v30
	v_lshlrev_b32_e32 v24, v24, v37
	v_bfe_u32 v41, v20, 20, 11
	s_delay_alu instid0(VALU_DEP_4)
	v_cmp_ne_u32_e32 vcc_lo, 0, v19
	s_wait_alu 0xfffd
	v_cndmask_b32_e64 v19, 0, 1, vcc_lo
	v_cmp_gt_i32_e32 vcc_lo, 1, v9
	s_wait_loadcnt 0x0
	v_mul_f16_e32 v34, v38, v31
	v_mul_f16_e32 v38, v38, v10
	s_delay_alu instid0(VALU_DEP_2)
	v_fmac_f16_e32 v34, v42, v10
	v_or_b32_e32 v10, v35, v36
	v_lshl_or_b32 v35, v9, 12, v7
	v_lshrrev_b32_e32 v36, 8, v20
	v_fma_f16 v31, v42, v31, -v38
	v_lshrrev_b32_e32 v20, 16, v20
	s_wait_alu 0xfffd
	v_cndmask_b32_e32 v10, v35, v10, vcc_lo
	v_cmp_ne_u32_e32 vcc_lo, v26, v33
	v_and_or_b32 v19, 0xffe, v36, v19
	v_sub_nc_u32_e32 v35, 0x3f1, v41
	s_delay_alu instid0(VALU_DEP_4)
	v_and_b32_e32 v36, 7, v10
	s_wait_alu 0xfffd
	v_cndmask_b32_e64 v26, 0, 1, vcc_lo
	v_lshrrev_b32_e32 v10, 2, v10
	v_med3_i32 v33, v35, 0, 13
	v_or_b32_e32 v35, 0x1000, v19
	v_cmp_lt_i32_e32 vcc_lo, 5, v36
	v_cmp_eq_u32_e64 s0, 3, v36
	v_or_b32_e32 v22, v22, v26
	v_lshl_or_b32 v26, v17, 12, v1
	v_lshrrev_b32_e32 v36, v33, v35
	s_delay_alu instid0(VALU_DEP_4)
	s_or_b32 vcc_lo, s0, vcc_lo
	s_wait_alu 0xfffe
	v_add_co_ci_u32_e32 v10, vcc_lo, 0, v10, vcc_lo
	v_cndmask_b32_e64 v22, v26, v22, s1
	v_cmp_ne_u32_e32 vcc_lo, 0, v7
	v_cmp_eq_u32_e64 s1, 0x40f, v9
	v_lshlrev_b32_e32 v33, v33, v36
	s_delay_alu instid0(VALU_DEP_4)
	v_and_b32_e32 v26, 7, v22
	s_wait_alu 0xfffd
	v_cndmask_b32_e64 v7, 0, 1, vcc_lo
	v_cmp_gt_i32_e32 vcc_lo, 31, v9
	v_lshrrev_b32_e32 v22, 2, v22
	v_cvt_f32_f16_e32 v9, v34
	v_cmp_eq_u32_e64 s0, 3, v26
	v_lshl_or_b32 v7, v7, 9, 0x7c00
	s_wait_alu 0xfffd
	v_cndmask_b32_e32 v10, 0x7c00, v10, vcc_lo
	v_cmp_lt_i32_e32 vcc_lo, 5, v26
	v_add_nc_u32_e32 v26, 0xfffffc10, v32
	s_wait_alu 0xf1ff
	s_delay_alu instid0(VALU_DEP_3)
	v_cndmask_b32_e64 v7, v10, v7, s1
	s_or_b32 vcc_lo, s0, vcc_lo
	v_cvt_f64_f32_e32 v[9:10], v9
	s_wait_alu 0xfffe
	v_add_co_ci_u32_e32 v22, vcc_lo, 0, v22, vcc_lo
	v_cmp_ne_u32_e32 vcc_lo, 0, v1
	v_and_or_b32 v7, 0x8000, v16, v7
	s_wait_alu 0xfffd
	v_cndmask_b32_e64 v1, 0, 1, vcc_lo
	v_cmp_ne_u32_e32 vcc_lo, v28, v23
	s_delay_alu instid0(VALU_DEP_3)
	v_and_b32_e32 v7, 0xffff, v7
	scratch_load_b32 v28, off, off offset:12 th:TH_LOAD_LU ; 4-byte Folded Reload
	v_lshl_or_b32 v1, v1, 9, 0x7c00
	s_wait_alu 0xfffd
	v_cndmask_b32_e64 v23, 0, 1, vcc_lo
	v_cmp_gt_i32_e32 vcc_lo, 31, v17
	s_delay_alu instid0(VALU_DEP_2)
	v_or_b32_e32 v23, v27, v23
	s_wait_alu 0xfffd
	v_cndmask_b32_e32 v22, 0x7c00, v22, vcc_lo
	v_cmp_eq_u32_e32 vcc_lo, 0x40f, v17
	v_lshl_or_b32 v27, v26, 12, v29
	v_lshrrev_b32_e32 v17, 16, v18
	v_add_nc_u32_e32 v18, 0xfffffc10, v21
	s_wait_alu 0xfffd
	v_cndmask_b32_e32 v1, v22, v1, vcc_lo
	v_cmp_gt_i32_e32 vcc_lo, 1, v26
	s_delay_alu instid0(VALU_DEP_3) | instskip(NEXT) | instid1(VALU_DEP_3)
	v_cmp_gt_i32_e64 s1, 1, v18
	v_and_or_b32 v1, 0x8000, v17, v1
	s_wait_alu 0xfffd
	v_cndmask_b32_e32 v16, v27, v23, vcc_lo
	v_cmp_ne_u32_e32 vcc_lo, v11, v15
	v_lshl_or_b32 v17, v18, 12, v13
	scratch_load_b32 v27, off, off offset:20 th:TH_LOAD_LU ; 4-byte Folded Reload
	v_lshl_or_b32 v1, v1, 16, v7
	v_and_b32_e32 v15, 7, v16
	s_wait_alu 0xfffd
	v_cndmask_b32_e64 v11, 0, 1, vcc_lo
	v_lshrrev_b32_e32 v7, 2, v16
	v_cvt_f32_f16_e32 v16, v31
	v_mul_f64_e32 v[9:10], s[6:7], v[9:10]
	v_cmp_lt_i32_e32 vcc_lo, 5, v15
	v_cmp_eq_u32_e64 s0, 3, v15
	v_or_b32_e32 v11, v30, v11
	global_store_b32 v[3:4], v1, off
	s_or_b32 vcc_lo, s0, vcc_lo
	v_cndmask_b32_e64 v11, v17, v11, s1
	s_wait_alu 0xfffe
	v_add_co_ci_u32_e32 v7, vcc_lo, 0, v7, vcc_lo
	v_cmp_ne_u32_e32 vcc_lo, 0, v29
	v_cmp_eq_u32_e64 s1, 0x40f, v26
	v_and_b32_e32 v17, 7, v11
	v_lshrrev_b32_e32 v11, 2, v11
	s_wait_alu 0xfffd
	v_cndmask_b32_e64 v15, 0, 1, vcc_lo
	v_cmp_gt_i32_e32 vcc_lo, 31, v26
	scratch_load_b32 v26, off, off offset:24 th:TH_LOAD_LU ; 4-byte Folded Reload
	v_cmp_eq_u32_e64 s0, 3, v17
	v_lshl_or_b32 v21, v15, 9, 0x7c00
	s_wait_alu 0xfffd
	v_cndmask_b32_e32 v7, 0x7c00, v7, vcc_lo
	v_cmp_lt_i32_e32 vcc_lo, 5, v17
	v_cvt_f64_f32_e32 v[15:16], v16
	s_wait_alu 0xf1ff
	s_delay_alu instid0(VALU_DEP_3)
	v_cndmask_b32_e64 v7, v7, v21, s1
	v_cmp_ne_u32_e64 s1, v24, v40
	scratch_load_b32 v24, off, off offset:28 th:TH_LOAD_LU ; 4-byte Folded Reload
	s_or_b32 vcc_lo, s0, vcc_lo
	v_add_nc_u32_e32 v21, 0xfffffc10, v39
	s_wait_alu 0xfffe
	v_add_co_ci_u32_e32 v11, vcc_lo, 0, v11, vcc_lo
	v_cmp_ne_u32_e32 vcc_lo, 0, v13
	v_cndmask_b32_e64 v17, 0, 1, s1
	v_lshl_or_b32 v22, v21, 12, v25
	v_and_or_b32 v1, 0x1ff, v10, v9
	s_wait_alu 0xfffd
	v_cndmask_b32_e64 v13, 0, 1, vcc_lo
	v_cmp_gt_i32_e32 vcc_lo, 31, v18
	v_or_b32_e32 v17, v37, v17
	v_cmp_ne_u32_e64 s1, 0, v1
	s_delay_alu instid0(VALU_DEP_4)
	v_lshl_or_b32 v13, v13, 9, 0x7c00
	s_wait_alu 0xfffd
	v_cndmask_b32_e32 v11, 0x7c00, v11, vcc_lo
	v_cmp_gt_i32_e32 vcc_lo, 1, v21
	s_wait_alu 0xf1ff
	v_cndmask_b32_e64 v1, 0, 1, s1
	s_wait_alu 0xfffd
	v_cndmask_b32_e32 v17, v22, v17, vcc_lo
	v_cmp_eq_u32_e32 vcc_lo, 0x40f, v18
	v_add_nc_u32_e32 v18, 0xfffffc10, v41
	v_and_or_b32 v22, 0x8000, v6, v7
	s_delay_alu instid0(VALU_DEP_4)
	v_and_b32_e32 v23, 7, v17
	s_wait_alu 0xfffd
	v_cndmask_b32_e32 v11, v11, v13, vcc_lo
	v_cmp_ne_u32_e32 vcc_lo, v33, v35
	v_lshl_or_b32 v7, v18, 12, v19
	v_cmp_gt_i32_e64 s0, 1, v18
	s_delay_alu instid0(VALU_DEP_4) | instskip(SKIP_4) | instid1(VALU_DEP_3)
	v_and_or_b32 v11, 0x8000, v14, v11
	s_wait_alu 0xfffd
	v_cndmask_b32_e64 v13, 0, 1, vcc_lo
	v_lshrrev_b32_e32 v14, 16, v0
	v_cmp_lt_i32_e32 vcc_lo, 5, v23
	v_or_b32_e32 v6, v36, v13
	s_wait_alu 0xf1ff
	s_delay_alu instid0(VALU_DEP_1)
	v_cndmask_b32_e64 v13, v7, v6, s0
	v_mul_f64_e32 v[6:7], s[6:7], v[15:16]
	v_cmp_eq_u32_e64 s0, 3, v23
	v_lshrrev_b32_e32 v15, 2, v17
	v_bfe_u32 v17, v10, 20, 11
	v_and_b32_e32 v9, 7, v13
	v_lshrrev_b32_e32 v13, 2, v13
	s_or_b32 vcc_lo, s0, vcc_lo
	s_wait_alu 0xfffe
	v_add_co_ci_u32_e32 v15, vcc_lo, 0, v15, vcc_lo
	v_cmp_lt_i32_e64 s1, 5, v9
	v_cmp_eq_u32_e64 s2, 3, v9
	v_lshrrev_b32_e32 v9, 8, v10
	v_cmp_ne_u32_e32 vcc_lo, 0, v25
	v_sub_nc_u32_e32 v25, 0x3f1, v17
	v_add_nc_u32_e32 v17, 0xfffffc10, v17
	s_delay_alu instid0(VALU_DEP_4) | instskip(SKIP_4) | instid1(VALU_DEP_3)
	v_and_or_b32 v9, 0xffe, v9, v1
	s_wait_alu 0xfffd
	v_cndmask_b32_e64 v1, 0, 1, vcc_lo
	v_cmp_gt_i32_e32 vcc_lo, 31, v21
	v_med3_i32 v25, v25, 0, 13
	v_lshl_or_b32 v23, v1, 9, 0x7c00
	s_wait_alu 0xfffd
	v_cndmask_b32_e32 v15, 0x7c00, v15, vcc_lo
	v_cmp_eq_u32_e32 vcc_lo, 0x40f, v21
	s_wait_alu 0xfffd
	s_delay_alu instid0(VALU_DEP_2)
	v_cndmask_b32_e32 v15, v15, v23, vcc_lo
	s_or_b32 vcc_lo, s2, s1
	v_lshrrev_b32_e32 v23, 16, v5
	s_wait_alu 0xfffe
	v_add_co_ci_u32_e32 v13, vcc_lo, 0, v13, vcc_lo
	v_cmp_ne_u32_e32 vcc_lo, 0, v19
	v_and_or_b32 v6, 0x1ff, v7, v6
	s_wait_alu 0xfffd
	v_cndmask_b32_e64 v19, 0, 1, vcc_lo
	v_cmp_gt_i32_e32 vcc_lo, 31, v18
	s_delay_alu instid0(VALU_DEP_2)
	v_lshl_or_b32 v19, v19, 9, 0x7c00
	s_wait_alu 0xfffd
	v_cndmask_b32_e32 v13, 0x7c00, v13, vcc_lo
	v_cmp_ne_u32_e32 vcc_lo, 0, v6
	s_wait_loadcnt 0x0
	v_mul_f16_e32 v16, v24, v14
	v_mul_f16_e32 v24, v24, v0
	s_delay_alu instid0(VALU_DEP_2) | instskip(NEXT) | instid1(VALU_DEP_2)
	v_fmac_f16_e32 v16, v26, v0
	v_fma_f16 v14, v26, v14, -v24
	v_bfe_u32 v26, v7, 20, 11
	s_delay_alu instid0(VALU_DEP_3) | instskip(NEXT) | instid1(VALU_DEP_3)
	v_cvt_f32_f16_e32 v16, v16
	v_cvt_f32_f16_e32 v5, v14
	s_wait_alu 0xfffd
	v_cndmask_b32_e64 v14, 0, 1, vcc_lo
	s_delay_alu instid0(VALU_DEP_3) | instskip(SKIP_3) | instid1(VALU_DEP_2)
	v_cvt_f64_f32_e32 v[0:1], v16
	v_and_b32_e32 v16, 0xffff, v22
	v_or_b32_e32 v22, 0x1000, v9
	v_cvt_f64_f32_e32 v[5:6], v5
	v_lshrrev_b32_e32 v21, v25, v22
	s_delay_alu instid0(VALU_DEP_1) | instskip(SKIP_2) | instid1(VALU_DEP_3)
	v_lshlrev_b32_e32 v24, v25, v21
	v_lshrrev_b32_e32 v25, 8, v7
	v_lshrrev_b32_e32 v7, 16, v7
	v_cmp_ne_u32_e32 vcc_lo, v24, v22
	s_delay_alu instid0(VALU_DEP_3) | instskip(SKIP_4) | instid1(VALU_DEP_3)
	v_and_or_b32 v24, 0xffe, v25, v14
	v_sub_nc_u32_e32 v14, 0x3f1, v26
	s_wait_alu 0xfffd
	v_cndmask_b32_e64 v22, 0, 1, vcc_lo
	v_cmp_eq_u32_e32 vcc_lo, 0x40f, v18
	v_med3_i32 v25, v14, 0, 13
	s_wait_alu 0xfffd
	v_cndmask_b32_e32 v18, v13, v19, vcc_lo
	v_or_b32_e32 v19, v21, v22
	v_lshl_or_b32 v21, v17, 12, v9
	v_cmp_gt_i32_e32 vcc_lo, 1, v17
	v_or_b32_e32 v22, 0x1000, v24
	v_mul_f64_e32 v[13:14], s[6:7], v[0:1]
	s_wait_alu 0xfffd
	v_cndmask_b32_e32 v1, v21, v19, vcc_lo
	v_add_nc_u32_e32 v21, 0xfffffc10, v26
	scratch_load_b32 v26, off, off offset:16 th:TH_LOAD_LU ; 4-byte Folded Reload
	v_and_or_b32 v0, 0x8000, v23, v15
	v_lshrrev_b32_e32 v15, v25, v22
	v_lshl_or_b32 v19, v11, 16, v16
	v_and_b32_e32 v16, 7, v1
	v_add_co_u32 v3, vcc_lo, v3, s10
	v_and_or_b32 v11, 0x8000, v20, v18
	v_lshlrev_b32_e32 v18, v25, v15
	s_wait_alu 0xfffd
	v_add_co_ci_u32_e32 v4, vcc_lo, s11, v4, vcc_lo
	v_cmp_lt_i32_e32 vcc_lo, 5, v16
	v_cmp_eq_u32_e64 s0, 3, v16
	v_lshrrev_b32_e32 v1, 2, v1
	v_cmp_ne_u32_e64 s1, v18, v22
	v_mul_f64_e32 v[5:6], s[6:7], v[5:6]
	v_and_b32_e32 v0, 0xffff, v0
	s_or_b32 vcc_lo, s0, vcc_lo
	v_lshl_or_b32 v22, v21, 12, v24
	s_wait_alu 0xfffe
	v_add_co_ci_u32_e32 v1, vcc_lo, 0, v1, vcc_lo
	v_cndmask_b32_e64 v18, 0, 1, s1
	v_cmp_ne_u32_e32 vcc_lo, 0, v9
	v_lshl_or_b32 v23, v11, 16, v0
	v_lshrrev_b32_e32 v20, 16, v12
	s_delay_alu instid0(VALU_DEP_4) | instskip(SKIP_4) | instid1(VALU_DEP_3)
	v_or_b32_e32 v18, v15, v18
	s_wait_alu 0xfffd
	v_cndmask_b32_e64 v9, 0, 1, vcc_lo
	v_cmp_gt_i32_e32 vcc_lo, 1, v21
	v_mul_f16_e32 v16, v27, v20
	v_lshl_or_b32 v9, v9, 9, 0x7c00
	s_wait_alu 0xfffd
	v_cndmask_b32_e32 v11, v22, v18, vcc_lo
	v_cmp_gt_i32_e32 vcc_lo, 31, v17
	v_and_or_b32 v13, 0x1ff, v14, v13
	s_delay_alu instid0(VALU_DEP_3)
	v_and_b32_e32 v22, 7, v11
	s_wait_alu 0xfffd
	v_cndmask_b32_e32 v18, 0x7c00, v1, vcc_lo
	v_add_co_u32 v0, vcc_lo, v3, s10
	s_wait_alu 0xfffd
	v_add_co_ci_u32_e32 v1, vcc_lo, s11, v4, vcc_lo
	v_cmp_eq_u32_e32 vcc_lo, 0x40f, v17
	v_cmp_ne_u32_e64 s0, 0, v13
	v_lshrrev_b32_e32 v13, 8, v14
	s_wait_alu 0xfffd
	v_cndmask_b32_e32 v17, v18, v9, vcc_lo
	v_cmp_lt_i32_e32 vcc_lo, 5, v22
	s_wait_alu 0xf1ff
	v_cndmask_b32_e64 v9, 0, 1, s0
	v_cmp_eq_u32_e64 s0, 3, v22
	v_lshrrev_b32_e32 v22, 16, v10
	v_lshrrev_b32_e32 v10, 2, v11
	v_bfe_u32 v18, v14, 20, 11
	v_and_or_b32 v13, 0xffe, v13, v9
	s_or_b32 vcc_lo, s0, vcc_lo
	v_mul_f16_e32 v11, v27, v12
	s_wait_alu 0xfffe
	v_add_co_ci_u32_e32 v10, vcc_lo, 0, v10, vcc_lo
	v_sub_nc_u32_e32 v9, 0x3f1, v18
	v_cmp_ne_u32_e32 vcc_lo, 0, v24
	v_or_b32_e32 v25, 0x1000, v13
	v_and_or_b32 v5, 0x1ff, v6, v5
	v_add_nc_u32_e32 v18, 0xfffffc10, v18
	v_med3_i32 v9, v9, 0, 13
	v_and_or_b32 v17, 0x8000, v22, v17
	v_lshrrev_b32_e32 v14, 16, v14
	s_delay_alu instid0(VALU_DEP_3) | instskip(NEXT) | instid1(VALU_DEP_3)
	v_lshrrev_b32_e32 v24, v9, v25
	v_and_b32_e32 v17, 0xffff, v17
	s_delay_alu instid0(VALU_DEP_2)
	v_lshlrev_b32_e32 v27, v9, v24
	s_wait_loadcnt 0x0
	v_fmac_f16_e32 v16, v26, v12
	s_wait_alu 0xfffd
	v_cndmask_b32_e64 v12, 0, 1, vcc_lo
	v_cmp_gt_i32_e32 vcc_lo, 31, v21
	v_fma_f16 v11, v26, v20, -v11
	v_cvt_f32_f16_e32 v15, v16
	s_delay_alu instid0(VALU_DEP_4)
	v_lshl_or_b32 v26, v12, 9, 0x7c00
	s_wait_alu 0xfffd
	v_cndmask_b32_e32 v20, 0x7c00, v10, vcc_lo
	v_cmp_ne_u32_e32 vcc_lo, 0, v5
	v_cvt_f32_f16_e32 v11, v11
	v_cvt_f64_f32_e32 v[15:16], v15
	s_wait_alu 0xfffd
	v_cndmask_b32_e64 v5, 0, 1, vcc_lo
	v_cmp_eq_u32_e32 vcc_lo, 0x40f, v21
	v_cvt_f64_f32_e32 v[11:12], v11
	s_wait_alu 0xfffd
	v_cndmask_b32_e32 v20, v20, v26, vcc_lo
	v_cmp_ne_u32_e32 vcc_lo, v27, v25
	v_lshrrev_b32_e32 v26, 16, v2
	s_delay_alu instid0(VALU_DEP_3) | instskip(SKIP_4) | instid1(VALU_DEP_3)
	v_and_or_b32 v7, 0x8000, v7, v20
	s_wait_alu 0xfffd
	v_cndmask_b32_e64 v21, 0, 1, vcc_lo
	v_cmp_gt_i32_e32 vcc_lo, 1, v18
	v_mul_f16_e32 v22, v28, v26
	v_or_b32_e32 v21, v24, v21
	v_lshl_or_b32 v24, v18, 12, v13
	s_wait_alu 0xfffd
	s_delay_alu instid0(VALU_DEP_1)
	v_cndmask_b32_e32 v21, v24, v21, vcc_lo
	scratch_load_b32 v24, off, off offset:8 th:TH_LOAD_LU ; 4-byte Folded Reload
	global_store_b32 v[3:4], v19, off
	global_store_b32 v[0:1], v23, off
	v_lshl_or_b32 v3, v7, 16, v17
	v_and_b32_e32 v20, 7, v21
	v_lshrrev_b32_e32 v17, 2, v21
	s_delay_alu instid0(VALU_DEP_2)
	v_cmp_lt_i32_e32 vcc_lo, 5, v20
	v_mul_f64_e32 v[9:10], s[6:7], v[15:16]
	v_lshrrev_b32_e32 v15, 8, v6
	v_bfe_u32 v16, v6, 20, 11
	v_lshrrev_b32_e32 v6, 16, v6
	v_mul_f64_e32 v[11:12], s[6:7], v[11:12]
	s_delay_alu instid0(VALU_DEP_4) | instskip(NEXT) | instid1(VALU_DEP_4)
	v_and_or_b32 v15, 0xffe, v15, v5
	v_sub_nc_u32_e32 v5, 0x3f1, v16
	v_add_nc_u32_e32 v16, 0xfffffc10, v16
	s_delay_alu instid0(VALU_DEP_3) | instskip(NEXT) | instid1(VALU_DEP_3)
	v_or_b32_e32 v25, 0x1000, v15
	v_med3_i32 v5, v5, 0, 13
	s_delay_alu instid0(VALU_DEP_3) | instskip(NEXT) | instid1(VALU_DEP_2)
	v_lshl_or_b32 v19, v16, 12, v15
	v_lshrrev_b32_e32 v27, v5, v25
	s_delay_alu instid0(VALU_DEP_1) | instskip(NEXT) | instid1(VALU_DEP_1)
	v_lshlrev_b32_e32 v5, v5, v27
	v_cmp_ne_u32_e64 s0, v5, v25
	s_wait_alu 0xf1ff
	s_delay_alu instid0(VALU_DEP_1) | instskip(SKIP_1) | instid1(VALU_DEP_2)
	v_cndmask_b32_e64 v7, 0, 1, s0
	v_cmp_eq_u32_e64 s0, 3, v20
	v_or_b32_e32 v7, v27, v7
	v_and_or_b32 v9, 0x1ff, v10, v9
	s_delay_alu instid0(VALU_DEP_3)
	s_or_b32 vcc_lo, s0, vcc_lo
	v_lshrrev_b32_e32 v20, 8, v10
	s_wait_alu 0xfffe
	v_add_co_ci_u32_e32 v17, vcc_lo, 0, v17, vcc_lo
	v_cmp_ne_u32_e64 s1, 0, v9
	v_cmp_gt_i32_e32 vcc_lo, 1, v16
	v_bfe_u32 v21, v10, 20, 11
	v_and_or_b32 v11, 0x1ff, v12, v11
	s_wait_alu 0xf1ff
	v_cndmask_b32_e64 v9, 0, 1, s1
	s_wait_alu 0xfffd
	v_cndmask_b32_e32 v7, v19, v7, vcc_lo
	v_cmp_ne_u32_e32 vcc_lo, 0, v13
	v_sub_nc_u32_e32 v19, 0x3f1, v21
	v_cmp_eq_u32_e64 s1, 0x40f, v18
	v_and_or_b32 v9, 0xffe, v20, v9
	v_and_b32_e32 v20, 7, v7
	s_wait_alu 0xfffd
	v_cndmask_b32_e64 v13, 0, 1, vcc_lo
	v_cmp_gt_i32_e32 vcc_lo, 31, v18
	v_med3_i32 v19, v19, 0, 13
	v_lshrrev_b32_e32 v7, 2, v7
	v_cmp_eq_u32_e64 s0, 3, v20
	v_lshl_or_b32 v13, v13, 9, 0x7c00
	s_wait_alu 0xfffd
	v_cndmask_b32_e32 v17, 0x7c00, v17, vcc_lo
	v_cmp_lt_i32_e32 vcc_lo, 5, v20
	v_add_nc_u32_e32 v18, 0xfffffc10, v21
	v_lshrrev_b32_e32 v21, 16, v8
	s_wait_alu 0xf1ff
	v_cndmask_b32_e64 v13, v17, v13, s1
	s_or_b32 vcc_lo, s0, vcc_lo
	s_wait_alu 0xfffe
	v_add_co_ci_u32_e32 v7, vcc_lo, 0, v7, vcc_lo
	v_cmp_ne_u32_e32 vcc_lo, 0, v15
	v_and_or_b32 v20, 0x8000, v14, v13
	s_wait_alu 0xfffd
	v_cndmask_b32_e64 v15, 0, 1, vcc_lo
	s_delay_alu instid0(VALU_DEP_2) | instskip(NEXT) | instid1(VALU_DEP_2)
	v_and_b32_e32 v20, 0xffff, v20
	v_lshl_or_b32 v15, v15, 9, 0x7c00
	s_wait_loadcnt 0x0
	v_fmac_f16_e32 v22, v24, v2
	v_mul_f16_e32 v2, v28, v2
	s_delay_alu instid0(VALU_DEP_2) | instskip(SKIP_1) | instid1(VALU_DEP_3)
	v_cvt_f32_f16_e32 v4, v22
	v_or_b32_e32 v22, 0x1000, v9
	v_fma_f16 v2, v24, v26, -v2
	scratch_load_b32 v24, off, off th:TH_LOAD_LU ; 4-byte Folded Reload
	v_cvt_f64_f32_e32 v[4:5], v4
	v_lshrrev_b32_e32 v23, v19, v22
	v_cvt_f32_f16_e32 v2, v2
	s_delay_alu instid0(VALU_DEP_2) | instskip(SKIP_1) | instid1(VALU_DEP_3)
	v_lshlrev_b32_e32 v17, v19, v23
	v_lshl_or_b32 v19, v18, 12, v9
	v_cvt_f64_f32_e32 v[13:14], v2
	v_bfe_u32 v2, v12, 20, 11
	s_delay_alu instid0(VALU_DEP_4) | instskip(SKIP_3) | instid1(VALU_DEP_2)
	v_cmp_ne_u32_e32 vcc_lo, v17, v22
	s_wait_alu 0xfffd
	v_cndmask_b32_e64 v17, 0, 1, vcc_lo
	v_cmp_gt_i32_e32 vcc_lo, 31, v16
	v_or_b32_e32 v17, v23, v17
	scratch_load_b32 v23, off, off offset:4 th:TH_LOAD_LU ; 4-byte Folded Reload
	s_wait_alu 0xfffd
	v_cndmask_b32_e32 v7, 0x7c00, v7, vcc_lo
	v_cmp_gt_i32_e32 vcc_lo, 1, v18
	s_wait_alu 0xfffd
	v_cndmask_b32_e32 v17, v19, v17, vcc_lo
	v_cmp_ne_u32_e32 vcc_lo, 0, v11
	v_lshrrev_b32_e32 v19, 8, v12
	v_lshrrev_b32_e32 v12, 16, v12
	s_wait_alu 0xfffd
	v_cndmask_b32_e64 v11, 0, 1, vcc_lo
	v_cmp_eq_u32_e32 vcc_lo, 0x40f, v16
	v_sub_nc_u32_e32 v16, 0x3f1, v2
	v_mul_f64_e32 v[4:5], s[6:7], v[4:5]
	v_add_nc_u32_e32 v2, 0xfffffc10, v2
	v_and_or_b32 v11, 0xffe, v19, v11
	s_wait_alu 0xfffd
	v_cndmask_b32_e32 v7, v7, v15, vcc_lo
	v_and_b32_e32 v15, 7, v17
	v_med3_i32 v16, v16, 0, 13
	v_or_b32_e32 v22, 0x1000, v11
	s_delay_alu instid0(VALU_DEP_3) | instskip(SKIP_4) | instid1(VALU_DEP_4)
	v_cmp_lt_i32_e32 vcc_lo, 5, v15
	v_cmp_eq_u32_e64 s0, 3, v15
	v_and_or_b32 v15, 0x8000, v6, v7
	v_lshrrev_b32_e32 v6, 2, v17
	v_lshrrev_b32_e32 v17, v16, v22
	s_or_b32 vcc_lo, s0, vcc_lo
	s_delay_alu instid0(VALU_DEP_3) | instskip(NEXT) | instid1(VALU_DEP_2)
	v_lshl_or_b32 v15, v15, 16, v20
	v_lshlrev_b32_e32 v16, v16, v17
	v_and_or_b32 v4, 0x1ff, v5, v4
	s_wait_loadcnt 0x0
	v_mul_f16_e32 v19, v23, v21
	s_delay_alu instid0(VALU_DEP_1) | instskip(SKIP_1) | instid1(VALU_DEP_2)
	v_fmac_f16_e32 v19, v24, v8
	v_mul_f16_e32 v8, v23, v8
	v_cvt_f32_f16_e32 v7, v19
	s_wait_alu 0xfffe
	v_add_co_ci_u32_e32 v19, vcc_lo, 0, v6, vcc_lo
	v_cmp_ne_u32_e32 vcc_lo, 0, v9
	v_fma_f16 v8, v24, v21, -v8
	v_cvt_f64_f32_e32 v[6:7], v7
	v_lshrrev_b32_e32 v9, 8, v5
	v_bfe_u32 v21, v5, 20, 11
	s_wait_alu 0xfffd
	v_cndmask_b32_e64 v23, 0, 1, vcc_lo
	v_cmp_ne_u32_e32 vcc_lo, 0, v4
	v_lshrrev_b32_e32 v5, 16, v5
	v_sub_nc_u32_e32 v24, 0x3f1, v21
	s_delay_alu instid0(VALU_DEP_4)
	v_lshl_or_b32 v23, v23, 9, 0x7c00
	s_wait_alu 0xfffd
	v_cndmask_b32_e64 v4, 0, 1, vcc_lo
	v_cmp_ne_u32_e32 vcc_lo, v16, v22
	v_cvt_f32_f16_e32 v22, v8
	v_med3_i32 v24, v24, 0, 13
	s_delay_alu instid0(VALU_DEP_4)
	v_and_or_b32 v4, 0xffe, v9, v4
	s_wait_alu 0xfffd
	v_cndmask_b32_e64 v16, 0, 1, vcc_lo
	v_mul_f64_e32 v[8:9], s[6:7], v[13:14]
	v_cvt_f64_f32_e32 v[13:14], v22
	v_cmp_gt_i32_e32 vcc_lo, 31, v18
	v_or_b32_e32 v22, 0x1000, v4
	v_or_b32_e32 v16, v17, v16
	v_lshl_or_b32 v17, v2, 12, v11
	s_wait_alu 0xfffd
	v_cndmask_b32_e32 v19, 0x7c00, v19, vcc_lo
	v_cmp_gt_i32_e32 vcc_lo, 1, v2
	v_lshrrev_b32_e32 v25, v24, v22
	s_wait_alu 0xfffd
	v_cndmask_b32_e32 v16, v17, v16, vcc_lo
	v_add_co_u32 v0, vcc_lo, v0, s10
	s_wait_alu 0xfffd
	v_add_co_ci_u32_e32 v1, vcc_lo, s11, v1, vcc_lo
	v_lshlrev_b32_e32 v17, v24, v25
	v_and_b32_e32 v24, 7, v16
	v_cmp_eq_u32_e32 vcc_lo, 0x40f, v18
	v_mul_f64_e32 v[6:7], s[6:7], v[6:7]
	s_delay_alu instid0(VALU_DEP_4) | instskip(NEXT) | instid1(VALU_DEP_4)
	v_cmp_ne_u32_e64 s1, v17, v22
	v_cmp_eq_u32_e64 s0, 3, v24
	s_wait_alu 0xfffd
	v_cndmask_b32_e32 v18, v19, v23, vcc_lo
	v_cmp_lt_i32_e32 vcc_lo, 5, v24
	v_lshrrev_b32_e32 v19, 16, v10
	v_lshrrev_b32_e32 v10, 2, v16
	s_wait_alu 0xf1ff
	v_cndmask_b32_e64 v16, 0, 1, s1
	v_add_nc_u32_e32 v17, 0xfffffc10, v21
	s_or_b32 vcc_lo, s0, vcc_lo
	v_and_or_b32 v18, 0x8000, v19, v18
	s_wait_alu 0xfffe
	v_add_co_ci_u32_e32 v10, vcc_lo, 0, v10, vcc_lo
	v_cmp_ne_u32_e32 vcc_lo, 0, v11
	v_or_b32_e32 v16, v25, v16
	v_lshl_or_b32 v20, v17, 12, v4
	v_and_or_b32 v8, 0x1ff, v9, v8
	v_bfe_u32 v23, v9, 20, 11
	s_wait_alu 0xfffd
	v_cndmask_b32_e64 v11, 0, 1, vcc_lo
	v_cmp_gt_i32_e32 vcc_lo, 31, v2
	v_and_b32_e32 v18, 0xffff, v18
	s_delay_alu instid0(VALU_DEP_3)
	v_lshl_or_b32 v22, v11, 9, 0x7c00
	s_wait_alu 0xfffd
	v_cndmask_b32_e32 v21, 0x7c00, v10, vcc_lo
	v_mul_f64_e32 v[10:11], s[6:7], v[13:14]
	v_add_co_u32 v13, vcc_lo, v0, s10
	s_wait_alu 0xfffd
	v_add_co_ci_u32_e32 v14, vcc_lo, s11, v1, vcc_lo
	v_cmp_gt_i32_e32 vcc_lo, 1, v17
	s_wait_alu 0xfffd
	v_cndmask_b32_e32 v16, v20, v16, vcc_lo
	v_cmp_ne_u32_e32 vcc_lo, 0, v8
	v_lshrrev_b32_e32 v20, 8, v9
	v_and_or_b32 v6, 0x1ff, v7, v6
	v_lshrrev_b32_e32 v9, 16, v9
	s_wait_alu 0xfffd
	v_cndmask_b32_e64 v8, 0, 1, vcc_lo
	v_cmp_eq_u32_e32 vcc_lo, 0x40f, v2
	s_delay_alu instid0(VALU_DEP_2)
	v_and_or_b32 v8, 0xffe, v20, v8
	s_wait_alu 0xfffd
	v_dual_cndmask_b32 v2, v21, v22 :: v_dual_and_b32 v21, 7, v16
	v_sub_nc_u32_e32 v20, 0x3f1, v23
	v_lshrrev_b32_e32 v16, 2, v16
	v_bfe_u32 v22, v7, 20, 11
	s_delay_alu instid0(VALU_DEP_4)
	v_and_or_b32 v2, 0x8000, v12, v2
	v_cmp_lt_i32_e32 vcc_lo, 5, v21
	v_cmp_eq_u32_e64 s0, 3, v21
	v_or_b32_e32 v12, 0x1000, v8
	v_med3_i32 v19, v20, 0, 13
	v_lshrrev_b32_e32 v21, 8, v7
	v_lshrrev_b32_e32 v7, 16, v7
	s_or_b32 vcc_lo, s0, vcc_lo
	v_lshl_or_b32 v2, v2, 16, v18
	s_wait_alu 0xfffe
	v_add_co_ci_u32_e32 v16, vcc_lo, 0, v16, vcc_lo
	v_lshrrev_b32_e32 v20, v19, v12
	v_cmp_ne_u32_e32 vcc_lo, 0, v6
	v_and_or_b32 v10, 0x1ff, v11, v10
	v_lshrrev_b32_e32 v24, 8, v11
	v_bfe_u32 v25, v11, 20, 11
	v_lshlrev_b32_e32 v19, v19, v20
	s_wait_alu 0xfffd
	v_cndmask_b32_e64 v6, 0, 1, vcc_lo
	v_cmp_ne_u32_e32 vcc_lo, 0, v4
	s_delay_alu instid0(VALU_DEP_2)
	v_and_or_b32 v6, 0xffe, v21, v6
	s_wait_alu 0xfffd
	v_cndmask_b32_e64 v4, 0, 1, vcc_lo
	v_cmp_ne_u32_e32 vcc_lo, v19, v12
	v_sub_nc_u32_e32 v21, 0x3f1, v22
	v_add_nc_u32_e32 v19, 0xfffffc10, v23
	v_or_b32_e32 v23, 0x1000, v6
	v_lshl_or_b32 v4, v4, 9, 0x7c00
	s_wait_alu 0xfffd
	v_cndmask_b32_e64 v12, 0, 1, vcc_lo
	v_cmp_gt_i32_e32 vcc_lo, 31, v17
	v_med3_i32 v21, v21, 0, 13
	s_delay_alu instid0(VALU_DEP_3)
	v_or_b32_e32 v12, v20, v12
	s_wait_alu 0xfffd
	v_cndmask_b32_e32 v16, 0x7c00, v16, vcc_lo
	v_cmp_ne_u32_e32 vcc_lo, 0, v10
	v_lshl_or_b32 v20, v19, 12, v8
	v_lshrrev_b32_e32 v26, v21, v23
	s_wait_alu 0xfffd
	v_cndmask_b32_e64 v10, 0, 1, vcc_lo
	v_cmp_gt_i32_e32 vcc_lo, 1, v19
	s_delay_alu instid0(VALU_DEP_2)
	v_and_or_b32 v10, 0xffe, v24, v10
	v_sub_nc_u32_e32 v24, 0x3f1, v25
	s_wait_alu 0xfffd
	v_cndmask_b32_e32 v12, v20, v12, vcc_lo
	v_lshlrev_b32_e32 v20, v21, v26
	v_cmp_eq_u32_e32 vcc_lo, 0x40f, v17
	v_or_b32_e32 v21, 0x1000, v10
	v_med3_i32 v24, v24, 0, 13
	v_add_nc_u32_e32 v17, 0xfffffc10, v22
	v_and_b32_e32 v27, 7, v12
	s_wait_alu 0xfffd
	v_cndmask_b32_e32 v4, v16, v4, vcc_lo
	v_cmp_ne_u32_e32 vcc_lo, v20, v23
	v_lshrrev_b32_e32 v20, v24, v21
	v_lshl_or_b32 v22, v17, 12, v6
	v_cmp_gt_i32_e64 s1, 1, v17
	v_cmp_eq_u32_e64 s0, 3, v27
	s_wait_alu 0xfffd
	v_cndmask_b32_e64 v16, 0, 1, vcc_lo
	v_lshlrev_b32_e32 v23, v24, v20
	v_cmp_lt_i32_e32 vcc_lo, 5, v27
	v_lshrrev_b32_e32 v12, 2, v12
	v_and_or_b32 v4, 0x8000, v5, v4
	v_or_b32_e32 v16, v26, v16
	s_or_b32 vcc_lo, s0, vcc_lo
	s_wait_alu 0xfffe
	v_add_co_ci_u32_e32 v12, vcc_lo, 0, v12, vcc_lo
	s_delay_alu instid0(VALU_DEP_2) | instskip(SKIP_3) | instid1(VALU_DEP_4)
	v_cndmask_b32_e64 v16, v22, v16, s1
	v_cmp_ne_u32_e64 s1, v23, v21
	v_add_nc_u32_e32 v22, 0xfffffc10, v25
	v_cmp_ne_u32_e32 vcc_lo, 0, v8
	v_and_b32_e32 v23, 7, v16
	s_wait_alu 0xf1ff
	v_cndmask_b32_e64 v21, 0, 1, s1
	v_cmp_gt_i32_e64 s0, 1, v22
	s_wait_alu 0xfffd
	v_cndmask_b32_e64 v8, 0, 1, vcc_lo
	v_lshrrev_b32_e32 v16, 2, v16
	v_cmp_lt_i32_e32 vcc_lo, 5, v23
	v_or_b32_e32 v20, v20, v21
	v_lshl_or_b32 v21, v22, 12, v10
	v_cmp_gt_i32_e64 s1, 31, v19
	v_lshl_or_b32 v8, v8, 9, 0x7c00
	s_wait_alu 0xf1ff
	s_delay_alu instid0(VALU_DEP_3) | instskip(SKIP_3) | instid1(VALU_DEP_4)
	v_cndmask_b32_e64 v5, v21, v20, s0
	v_cmp_eq_u32_e64 s0, 3, v23
	v_cndmask_b32_e64 v12, 0x7c00, v12, s1
	v_cmp_eq_u32_e64 s1, 0x40f, v19
	v_and_b32_e32 v20, 7, v5
	s_delay_alu instid0(VALU_DEP_4)
	s_or_b32 vcc_lo, s0, vcc_lo
	v_lshrrev_b32_e32 v5, 2, v5
	s_wait_alu 0xfffe
	v_add_co_ci_u32_e32 v16, vcc_lo, 0, v16, vcc_lo
	v_cmp_ne_u32_e32 vcc_lo, 0, v6
	v_cmp_eq_u32_e64 s0, 3, v20
	v_cndmask_b32_e64 v8, v12, v8, s1
	v_cmp_gt_i32_e64 s1, 31, v17
	s_wait_alu 0xfffd
	v_cndmask_b32_e64 v6, 0, 1, vcc_lo
	v_cmp_lt_i32_e32 vcc_lo, 5, v20
	v_and_or_b32 v8, 0x8000, v9, v8
	s_wait_alu 0xf1ff
	v_cndmask_b32_e64 v12, 0x7c00, v16, s1
	v_and_b32_e32 v9, 0xffff, v4
	v_lshl_or_b32 v6, v6, 9, 0x7c00
	s_or_b32 vcc_lo, s0, vcc_lo
	s_wait_alu 0xfffe
	v_add_co_ci_u32_e32 v5, vcc_lo, 0, v5, vcc_lo
	v_cmp_ne_u32_e32 vcc_lo, 0, v10
	s_wait_alu 0xfffd
	v_cndmask_b32_e64 v10, 0, 1, vcc_lo
	v_cmp_eq_u32_e32 vcc_lo, 0x40f, v17
	s_delay_alu instid0(VALU_DEP_2) | instskip(SKIP_3) | instid1(VALU_DEP_2)
	v_lshl_or_b32 v10, v10, 9, 0x7c00
	s_wait_alu 0xfffd
	v_cndmask_b32_e32 v6, v12, v6, vcc_lo
	v_cmp_gt_i32_e32 vcc_lo, 31, v22
	v_and_or_b32 v6, 0x8000, v7, v6
	s_wait_alu 0xfffd
	v_cndmask_b32_e32 v5, 0x7c00, v5, vcc_lo
	v_cmp_eq_u32_e32 vcc_lo, 0x40f, v22
	s_wait_alu 0xfffd
	s_delay_alu instid0(VALU_DEP_2)
	v_cndmask_b32_e32 v7, v5, v10, vcc_lo
	v_lshrrev_b32_e32 v10, 16, v11
	v_add_co_u32 v4, vcc_lo, v13, s10
	s_wait_alu 0xfffd
	v_add_co_ci_u32_e32 v5, vcc_lo, s11, v14, vcc_lo
	v_lshl_or_b32 v11, v8, 16, v9
	v_and_or_b32 v8, 0x8000, v10, v7
	v_and_b32_e32 v9, 0xffff, v6
	v_add_co_u32 v6, vcc_lo, v4, s10
	s_wait_alu 0xfffd
	v_add_co_ci_u32_e32 v7, vcc_lo, s11, v5, vcc_lo
	s_delay_alu instid0(VALU_DEP_3) | instskip(NEXT) | instid1(VALU_DEP_3)
	v_lshl_or_b32 v10, v8, 16, v9
	v_add_co_u32 v8, vcc_lo, v6, s10
	s_wait_alu 0xfffd
	s_delay_alu instid0(VALU_DEP_3)
	v_add_co_ci_u32_e32 v9, vcc_lo, s11, v7, vcc_lo
	global_store_b32 v[0:1], v3, off
	global_store_b32 v[13:14], v15, off
	;; [unrolled: 1-line block ×5, first 2 shown]
.LBB0_2:
	s_nop 0
	s_sendmsg sendmsg(MSG_DEALLOC_VGPRS)
	s_endpgm
	.section	.rodata,"a",@progbits
	.p2align	6, 0x0
	.amdhsa_kernel bluestein_single_back_len3840_dim1_half_op_CI_CI
		.amdhsa_group_segment_fixed_size 15360
		.amdhsa_private_segment_fixed_size 380
		.amdhsa_kernarg_size 104
		.amdhsa_user_sgpr_count 2
		.amdhsa_user_sgpr_dispatch_ptr 0
		.amdhsa_user_sgpr_queue_ptr 0
		.amdhsa_user_sgpr_kernarg_segment_ptr 1
		.amdhsa_user_sgpr_dispatch_id 0
		.amdhsa_user_sgpr_private_segment_size 0
		.amdhsa_wavefront_size32 1
		.amdhsa_uses_dynamic_stack 0
		.amdhsa_enable_private_segment 1
		.amdhsa_system_sgpr_workgroup_id_x 1
		.amdhsa_system_sgpr_workgroup_id_y 0
		.amdhsa_system_sgpr_workgroup_id_z 0
		.amdhsa_system_sgpr_workgroup_info 0
		.amdhsa_system_vgpr_workitem_id 0
		.amdhsa_next_free_vgpr 256
		.amdhsa_next_free_sgpr 20
		.amdhsa_reserve_vcc 1
		.amdhsa_float_round_mode_32 0
		.amdhsa_float_round_mode_16_64 0
		.amdhsa_float_denorm_mode_32 3
		.amdhsa_float_denorm_mode_16_64 3
		.amdhsa_fp16_overflow 0
		.amdhsa_workgroup_processor_mode 1
		.amdhsa_memory_ordered 1
		.amdhsa_forward_progress 0
		.amdhsa_round_robin_scheduling 0
		.amdhsa_exception_fp_ieee_invalid_op 0
		.amdhsa_exception_fp_denorm_src 0
		.amdhsa_exception_fp_ieee_div_zero 0
		.amdhsa_exception_fp_ieee_overflow 0
		.amdhsa_exception_fp_ieee_underflow 0
		.amdhsa_exception_fp_ieee_inexact 0
		.amdhsa_exception_int_div_zero 0
	.end_amdhsa_kernel
	.text
.Lfunc_end0:
	.size	bluestein_single_back_len3840_dim1_half_op_CI_CI, .Lfunc_end0-bluestein_single_back_len3840_dim1_half_op_CI_CI
                                        ; -- End function
	.section	.AMDGPU.csdata,"",@progbits
; Kernel info:
; codeLenInByte = 67208
; NumSgprs: 22
; NumVgprs: 256
; ScratchSize: 380
; MemoryBound: 0
; FloatMode: 240
; IeeeMode: 1
; LDSByteSize: 15360 bytes/workgroup (compile time only)
; SGPRBlocks: 2
; VGPRBlocks: 31
; NumSGPRsForWavesPerEU: 22
; NumVGPRsForWavesPerEU: 256
; Occupancy: 5
; WaveLimiterHint : 1
; COMPUTE_PGM_RSRC2:SCRATCH_EN: 1
; COMPUTE_PGM_RSRC2:USER_SGPR: 2
; COMPUTE_PGM_RSRC2:TRAP_HANDLER: 0
; COMPUTE_PGM_RSRC2:TGID_X_EN: 1
; COMPUTE_PGM_RSRC2:TGID_Y_EN: 0
; COMPUTE_PGM_RSRC2:TGID_Z_EN: 0
; COMPUTE_PGM_RSRC2:TIDIG_COMP_CNT: 0
	.text
	.p2alignl 7, 3214868480
	.fill 96, 4, 3214868480
	.type	__hip_cuid_b07f4b91dc1aefbf,@object ; @__hip_cuid_b07f4b91dc1aefbf
	.section	.bss,"aw",@nobits
	.globl	__hip_cuid_b07f4b91dc1aefbf
__hip_cuid_b07f4b91dc1aefbf:
	.byte	0                               ; 0x0
	.size	__hip_cuid_b07f4b91dc1aefbf, 1

	.ident	"AMD clang version 19.0.0git (https://github.com/RadeonOpenCompute/llvm-project roc-6.4.0 25133 c7fe45cf4b819c5991fe208aaa96edf142730f1d)"
	.section	".note.GNU-stack","",@progbits
	.addrsig
	.addrsig_sym __hip_cuid_b07f4b91dc1aefbf
	.amdgpu_metadata
---
amdhsa.kernels:
  - .args:
      - .actual_access:  read_only
        .address_space:  global
        .offset:         0
        .size:           8
        .value_kind:     global_buffer
      - .actual_access:  read_only
        .address_space:  global
        .offset:         8
        .size:           8
        .value_kind:     global_buffer
      - .actual_access:  read_only
        .address_space:  global
        .offset:         16
        .size:           8
        .value_kind:     global_buffer
      - .actual_access:  read_only
        .address_space:  global
        .offset:         24
        .size:           8
        .value_kind:     global_buffer
      - .actual_access:  read_only
        .address_space:  global
        .offset:         32
        .size:           8
        .value_kind:     global_buffer
      - .offset:         40
        .size:           8
        .value_kind:     by_value
      - .address_space:  global
        .offset:         48
        .size:           8
        .value_kind:     global_buffer
      - .address_space:  global
        .offset:         56
        .size:           8
        .value_kind:     global_buffer
      - .address_space:  global
        .offset:         64
        .size:           8
        .value_kind:     global_buffer
      - .address_space:  global
        .offset:         72
        .size:           8
        .value_kind:     global_buffer
      - .offset:         80
        .size:           4
        .value_kind:     by_value
      - .address_space:  global
        .offset:         88
        .size:           8
        .value_kind:     global_buffer
      - .address_space:  global
        .offset:         96
        .size:           8
        .value_kind:     global_buffer
    .group_segment_fixed_size: 15360
    .kernarg_segment_align: 8
    .kernarg_segment_size: 104
    .language:       OpenCL C
    .language_version:
      - 2
      - 0
    .max_flat_workgroup_size: 128
    .name:           bluestein_single_back_len3840_dim1_half_op_CI_CI
    .private_segment_fixed_size: 380
    .sgpr_count:     22
    .sgpr_spill_count: 0
    .symbol:         bluestein_single_back_len3840_dim1_half_op_CI_CI.kd
    .uniform_work_group_size: 1
    .uses_dynamic_stack: false
    .vgpr_count:     256
    .vgpr_spill_count: 94
    .wavefront_size: 32
    .workgroup_processor_mode: 1
amdhsa.target:   amdgcn-amd-amdhsa--gfx1201
amdhsa.version:
  - 1
  - 2
...

	.end_amdgpu_metadata
